;; amdgpu-corpus repo=ROCm/rocFFT kind=compiled arch=gfx1201 opt=O3
	.text
	.amdgcn_target "amdgcn-amd-amdhsa--gfx1201"
	.amdhsa_code_object_version 6
	.protected	bluestein_single_back_len968_dim1_dp_op_CI_CI ; -- Begin function bluestein_single_back_len968_dim1_dp_op_CI_CI
	.globl	bluestein_single_back_len968_dim1_dp_op_CI_CI
	.p2align	8
	.type	bluestein_single_back_len968_dim1_dp_op_CI_CI,@function
bluestein_single_back_len968_dim1_dp_op_CI_CI: ; @bluestein_single_back_len968_dim1_dp_op_CI_CI
; %bb.0:
	s_load_b128 s[8:11], s[0:1], 0x28
	v_mul_u32_u24_e32 v1, 0x2e9, v0
	v_mov_b32_e32 v3, 0
	s_mov_b32 s2, exec_lo
	s_delay_alu instid0(VALU_DEP_2) | instskip(NEXT) | instid1(VALU_DEP_1)
	v_lshrrev_b32_e32 v42, 16, v1
	v_lshl_add_u32 v2, ttmp9, 1, v42
	s_wait_kmcnt 0x0
	s_delay_alu instid0(VALU_DEP_1)
	v_cmpx_gt_u64_e64 s[8:9], v[2:3]
	s_cbranch_execz .LBB0_31
; %bb.1:
	s_clause 0x1
	s_load_b128 s[4:7], s[0:1], 0x18
	s_load_b64 s[16:17], s[0:1], 0x0
	v_mul_lo_u16 v1, 0x58, v42
	s_movk_i32 s2, 0xfe74
	s_mov_b32 s3, -1
	s_load_b64 s[8:9], s[0:1], 0x38
	v_mov_b32_e32 v3, v2
	v_sub_nc_u16 v4, v0, v1
	s_delay_alu instid0(VALU_DEP_1)
	v_and_b32_e32 v24, 0xffff, v4
	scratch_store_b64 off, v[3:4], off offset:20 ; 8-byte Folded Spill
	s_wait_kmcnt 0x0
	s_load_b128 s[12:15], s[4:5], 0x0
	s_wait_kmcnt 0x0
	v_mad_co_u64_u32 v[12:13], null, s14, v2, 0
	v_mad_co_u64_u32 v[20:21], null, s12, v24, 0
	s_mul_u64 s[4:5], s[12:13], 0x1e4
	s_mul_u64 s[2:3], s[12:13], s[2:3]
	s_delay_alu instid0(SALU_CYCLE_1) | instskip(NEXT) | instid1(VALU_DEP_1)
	s_lshl_b64 s[2:3], s[2:3], 4
	v_dual_mov_b32 v0, v13 :: v_dual_mov_b32 v1, v21
	s_delay_alu instid0(VALU_DEP_1) | instskip(NEXT) | instid1(VALU_DEP_1)
	v_mad_co_u64_u32 v[2:3], null, s15, v2, v[0:1]
	v_dual_mov_b32 v13, v2 :: v_dual_lshlrev_b32 v182, 4, v24
	v_mad_co_u64_u32 v[14:15], null, s13, v24, v[1:2]
	s_clause 0x2
	global_load_b128 v[5:8], v182, s[16:17] offset:7744
	global_load_b128 v[15:18], v182, s[16:17]
	global_load_b128 v[25:28], v182, s[16:17] offset:1408
	v_lshlrev_b64_e32 v[22:23], 4, v[12:13]
	s_clause 0x1
	global_load_b128 v[9:12], v182, s[16:17] offset:9152
	global_load_b128 v[123:126], v182, s[16:17] offset:10560
	v_mov_b32_e32 v21, v14
	v_add_co_u32 v0, vcc_lo, s10, v22
	v_add_co_ci_u32_e32 v1, vcc_lo, s11, v23, vcc_lo
	s_delay_alu instid0(VALU_DEP_3) | instskip(SKIP_1) | instid1(VALU_DEP_1)
	v_lshlrev_b64_e32 v[20:21], 4, v[20:21]
	s_lshl_b64 s[10:11], s[4:5], 4
	v_add_co_u32 v32, vcc_lo, v0, v20
	s_wait_alu 0xfffd
	s_delay_alu instid0(VALU_DEP_2)
	v_add_co_ci_u32_e32 v33, vcc_lo, v1, v21, vcc_lo
	s_clause 0x1
	global_load_b128 v[0:3], v182, s[16:17] offset:2816
	global_load_b128 v[19:22], v182, s[16:17] offset:4224
	s_wait_alu 0xfffe
	v_add_co_u32 v34, vcc_lo, v32, s10
	s_wait_alu 0xfffd
	v_add_co_ci_u32_e32 v35, vcc_lo, s11, v33, vcc_lo
	global_load_b128 v[43:46], v[32:33], off
	v_add_co_u32 v36, vcc_lo, v34, s2
	s_wait_alu 0xfffd
	v_add_co_ci_u32_e32 v37, vcc_lo, s3, v35, vcc_lo
	global_load_b128 v[127:130], v182, s[16:17] offset:11968
	v_add_co_u32 v38, vcc_lo, v36, s10
	s_wait_alu 0xfffd
	v_add_co_ci_u32_e32 v39, vcc_lo, s11, v37, vcc_lo
	s_clause 0x1
	global_load_b128 v[47:50], v[34:35], off
	global_load_b128 v[51:54], v[36:37], off
	v_add_co_u32 v40, vcc_lo, v38, s2
	s_wait_alu 0xfffd
	v_add_co_ci_u32_e32 v41, vcc_lo, s3, v39, vcc_lo
	s_clause 0x1
	global_load_b128 v[55:58], v[38:39], off
	global_load_b128 v[59:62], v[40:41], off
	v_add_co_u32 v32, vcc_lo, v40, s10
	s_wait_alu 0xfffd
	v_add_co_ci_u32_e32 v33, vcc_lo, s11, v41, vcc_lo
	s_delay_alu instid0(VALU_DEP_2) | instskip(SKIP_1) | instid1(VALU_DEP_2)
	v_add_co_u32 v34, vcc_lo, v32, s2
	s_wait_alu 0xfffd
	v_add_co_ci_u32_e32 v35, vcc_lo, s3, v33, vcc_lo
	global_load_b128 v[63:66], v[32:33], off
	v_add_co_u32 v36, vcc_lo, v34, s10
	s_wait_alu 0xfffd
	v_add_co_ci_u32_e32 v37, vcc_lo, s11, v35, vcc_lo
	global_load_b128 v[67:70], v[34:35], off
	v_add_co_u32 v38, vcc_lo, v36, s2
	s_wait_alu 0xfffd
	v_add_co_ci_u32_e32 v39, vcc_lo, s3, v37, vcc_lo
	s_delay_alu instid0(VALU_DEP_2) | instskip(SKIP_1) | instid1(VALU_DEP_2)
	v_add_co_u32 v40, vcc_lo, v38, s10
	s_wait_alu 0xfffd
	v_add_co_ci_u32_e32 v41, vcc_lo, s11, v39, vcc_lo
	global_load_b128 v[71:74], v[36:37], off
	global_load_b128 v[29:32], v182, s[16:17] offset:5632
	global_load_b128 v[75:78], v[38:39], off
	global_load_b128 v[33:36], v182, s[16:17] offset:13376
	global_load_b128 v[79:82], v[40:41], off
	s_load_b128 s[4:7], s[6:7], 0x0
	s_wait_loadcnt 0x13
	scratch_store_b128 off, v[5:8], off offset:28 ; 16-byte Folded Spill
	s_wait_loadcnt 0x12
	scratch_store_b128 off, v[15:18], off offset:44 ; 16-byte Folded Spill
	;; [unrolled: 2-line block ×7, first 2 shown]
	s_wait_loadcnt 0xc
	v_mul_f64_e32 v[83:84], v[45:46], v[17:18]
	v_mul_f64_e32 v[85:86], v[43:44], v[17:18]
	s_wait_loadcnt 0xb
	scratch_store_b128 off, v[127:130], off offset:140 ; 16-byte Folded Spill
	s_wait_loadcnt 0xa
	v_mul_f64_e32 v[87:88], v[49:50], v[7:8]
	v_mul_f64_e32 v[89:90], v[47:48], v[7:8]
	s_wait_loadcnt 0x9
	v_mul_f64_e32 v[91:92], v[53:54], v[27:28]
	v_mul_f64_e32 v[93:94], v[51:52], v[27:28]
	s_wait_loadcnt 0x8
	v_mul_f64_e32 v[95:96], v[57:58], v[11:12]
	v_mul_f64_e32 v[97:98], v[55:56], v[11:12]
	s_wait_loadcnt 0x7
	v_mul_f64_e32 v[99:100], v[61:62], v[2:3]
	v_mul_f64_e32 v[101:102], v[59:60], v[2:3]
	s_wait_loadcnt 0x6
	v_mul_f64_e32 v[103:104], v[65:66], v[125:126]
	v_mul_f64_e32 v[105:106], v[63:64], v[125:126]
	s_wait_loadcnt 0x5
	v_mul_f64_e32 v[107:108], v[69:70], v[21:22]
	v_mul_f64_e32 v[109:110], v[67:68], v[21:22]
	s_wait_loadcnt 0x4
	v_mul_f64_e32 v[111:112], v[73:74], v[129:130]
	v_mul_f64_e32 v[113:114], v[71:72], v[129:130]
	s_wait_loadcnt 0x2
	v_mul_f64_e32 v[115:116], v[77:78], v[31:32]
	v_mul_f64_e32 v[117:118], v[75:76], v[31:32]
	s_wait_loadcnt 0x0
	v_mul_f64_e32 v[119:120], v[81:82], v[35:36]
	v_mul_f64_e32 v[121:122], v[79:80], v[35:36]
	v_fma_f64 v[43:44], v[43:44], v[15:16], v[83:84]
	v_fma_f64 v[45:46], v[45:46], v[15:16], -v[85:86]
	s_clause 0x1
	scratch_store_b128 off, v[29:32], off offset:164
	scratch_store_b128 off, v[33:36], off offset:180
	v_fma_f64 v[47:48], v[47:48], v[5:6], v[87:88]
	v_fma_f64 v[49:50], v[49:50], v[5:6], -v[89:90]
	v_fma_f64 v[51:52], v[51:52], v[25:26], v[91:92]
	v_fma_f64 v[53:54], v[53:54], v[25:26], -v[93:94]
	v_add_co_u32 v5, s12, s16, v182
	v_fma_f64 v[55:56], v[55:56], v[9:10], v[95:96]
	v_fma_f64 v[57:58], v[57:58], v[9:10], -v[97:98]
	v_fma_f64 v[59:60], v[59:60], v[0:1], v[99:100]
	v_fma_f64 v[61:62], v[61:62], v[0:1], -v[101:102]
	v_and_b32_e32 v0, 1, v42
	s_wait_alu 0xf1ff
	v_add_co_ci_u32_e64 v6, null, s17, 0, s12
	s_delay_alu instid0(VALU_DEP_2)
	v_cmp_eq_u32_e32 vcc_lo, 1, v0
	v_fma_f64 v[63:64], v[63:64], v[123:124], v[103:104]
	v_fma_f64 v[65:66], v[65:66], v[123:124], -v[105:106]
	s_wait_alu 0xfffd
	v_cndmask_b32_e64 v181, 0, 0x3c80, vcc_lo
	v_cmp_gt_u16_e32 vcc_lo, 44, v4
	v_fma_f64 v[67:68], v[67:68], v[19:20], v[107:108]
	v_fma_f64 v[69:70], v[69:70], v[19:20], -v[109:110]
	s_delay_alu instid0(VALU_DEP_4)
	v_add_nc_u32_e32 v180, v181, v182
	ds_store_b128 v180, v[43:46]
	ds_store_b128 v180, v[51:54] offset:1408
	ds_store_b128 v180, v[55:58] offset:9152
	;; [unrolled: 1-line block ×5, first 2 shown]
	v_fma_f64 v[75:76], v[75:76], v[29:30], v[115:116]
	v_fma_f64 v[77:78], v[77:78], v[29:30], -v[117:118]
	v_fma_f64 v[71:72], v[71:72], v[127:128], v[111:112]
	v_fma_f64 v[73:74], v[73:74], v[127:128], -v[113:114]
	;; [unrolled: 2-line block ×3, first 2 shown]
	ds_store_b128 v180, v[47:50] offset:7744
	ds_store_b128 v180, v[75:78] offset:5632
	;; [unrolled: 1-line block ×4, first 2 shown]
	s_and_saveexec_b32 s12, vcc_lo
	s_cbranch_execz .LBB0_3
; %bb.2:
	v_add_co_u32 v40, s2, v40, s2
	s_wait_alu 0xf1ff
	v_add_co_ci_u32_e64 v41, s2, s3, v41, s2
	s_delay_alu instid0(VALU_DEP_2) | instskip(SKIP_1) | instid1(VALU_DEP_2)
	v_add_co_u32 v52, s2, v40, s10
	s_wait_alu 0xf1ff
	v_add_co_ci_u32_e64 v53, s2, s11, v41, s2
	global_load_b128 v[40:43], v[40:41], off
	s_clause 0x1
	global_load_b128 v[44:47], v[5:6], off offset:7040
	global_load_b128 v[48:51], v[5:6], off offset:14784
	global_load_b128 v[52:55], v[52:53], off
	s_wait_loadcnt 0x2
	v_mul_f64_e32 v[56:57], v[42:43], v[46:47]
	v_mul_f64_e32 v[46:47], v[40:41], v[46:47]
	s_wait_loadcnt 0x0
	v_mul_f64_e32 v[58:59], v[54:55], v[50:51]
	v_mul_f64_e32 v[50:51], v[52:53], v[50:51]
	s_delay_alu instid0(VALU_DEP_4) | instskip(NEXT) | instid1(VALU_DEP_4)
	v_fma_f64 v[40:41], v[40:41], v[44:45], v[56:57]
	v_fma_f64 v[42:43], v[42:43], v[44:45], -v[46:47]
	s_delay_alu instid0(VALU_DEP_4) | instskip(NEXT) | instid1(VALU_DEP_4)
	v_fma_f64 v[44:45], v[52:53], v[48:49], v[58:59]
	v_fma_f64 v[46:47], v[54:55], v[48:49], -v[50:51]
	ds_store_b128 v180, v[40:43] offset:7040
	ds_store_b128 v180, v[44:47] offset:14784
.LBB0_3:
	s_wait_alu 0xfffe
	s_or_b32 exec_lo, exec_lo, s12
	global_wb scope:SCOPE_SE
	s_wait_storecnt_dscnt 0x0
	s_wait_kmcnt 0x0
	s_barrier_signal -1
	s_barrier_wait -1
	global_inv scope:SCOPE_SE
	ds_load_b128 v[40:43], v180
	ds_load_b128 v[44:47], v180 offset:1408
	ds_load_b128 v[80:83], v180 offset:9152
	;; [unrolled: 1-line block ×9, first 2 shown]
                                        ; implicit-def: $vgpr64_vgpr65
                                        ; implicit-def: $vgpr68_vgpr69
	s_and_saveexec_b32 s2, vcc_lo
	s_cbranch_execz .LBB0_5
; %bb.4:
	ds_load_b128 v[64:67], v180 offset:7040
	ds_load_b128 v[68:71], v180 offset:14784
.LBB0_5:
	s_wait_alu 0xfffe
	s_or_b32 exec_lo, exec_lo, s2
	s_wait_dscnt 0x3
	v_add_f64_e64 v[84:85], v[40:41], -v[84:85]
	v_add_f64_e64 v[86:87], v[42:43], -v[86:87]
	s_wait_dscnt 0x0
	v_add_f64_e64 v[88:89], v[60:61], -v[48:49]
	v_add_f64_e64 v[90:91], v[62:63], -v[50:51]
	v_add_f64_e64 v[48:49], v[64:65], -v[68:69]
	v_add_f64_e64 v[50:51], v[66:67], -v[70:71]
	v_add_f64_e64 v[80:81], v[44:45], -v[80:81]
	v_add_f64_e64 v[82:83], v[46:47], -v[82:83]
	v_add_f64_e64 v[76:77], v[56:57], -v[76:77]
	v_add_f64_e64 v[78:79], v[58:59], -v[78:79]
	v_add_f64_e64 v[72:73], v[52:53], -v[72:73]
	v_add_f64_e64 v[74:75], v[54:55], -v[74:75]
	s_load_b64 s[0:1], s[0:1], 0x8
	v_lshlrev_b32_e32 v100, 1, v24
	v_add_co_u32 v92, null, 0x1b8, v24
	global_wb scope:SCOPE_SE
	s_wait_kmcnt 0x0
	s_barrier_signal -1
	v_add_nc_u32_e32 v101, 0xb0, v100
	v_add_nc_u32_e32 v102, 0x160, v100
	;; [unrolled: 1-line block ×4, first 2 shown]
	v_lshl_add_u32 v0, v92, 5, v181
	s_barrier_wait -1
	global_inv scope:SCOPE_SE
	v_lshl_add_u32 v1, v24, 5, v181
	v_lshl_add_u32 v4, v101, 4, v181
	scratch_store_b32 off, v0, off offset:332 ; 4-byte Folded Spill
	v_lshl_add_u32 v3, v102, 4, v181
	v_lshl_add_u32 v2, v103, 4, v181
	scratch_store_b32 off, v1, off offset:196 ; 4-byte Folded Spill
	v_lshl_add_u32 v0, v104, 4, v181
	v_fma_f64 v[68:69], v[40:41], 2.0, -v[84:85]
	v_fma_f64 v[70:71], v[42:43], 2.0, -v[86:87]
	;; [unrolled: 1-line block ×12, first 2 shown]
	ds_store_b128 v1, v[68:71]
	ds_store_b128 v1, v[84:87] offset:16
	ds_store_b128 v4, v[44:47]
	scratch_store_b32 off, v4, off offset:228 ; 4-byte Folded Spill
	ds_store_b128 v4, v[80:83] offset:16
	ds_store_b128 v3, v[56:59]
	scratch_store_b32 off, v3, off offset:208 ; 4-byte Folded Spill
	;; [unrolled: 3-line block ×4, first 2 shown]
	ds_store_b128 v0, v[88:91] offset:16
	s_and_saveexec_b32 s2, vcc_lo
	s_cbranch_execz .LBB0_7
; %bb.6:
	v_lshl_add_u32 v0, v92, 5, v181
	ds_store_b128 v0, v[40:43]
	ds_store_b128 v0, v[48:51] offset:16
.LBB0_7:
	s_wait_alu 0xfffe
	s_or_b32 exec_lo, exec_lo, s2
	global_wb scope:SCOPE_SE
	s_wait_storecnt_dscnt 0x0
	s_barrier_signal -1
	s_barrier_wait -1
	global_inv scope:SCOPE_SE
	ds_load_b128 v[56:59], v180
	ds_load_b128 v[60:63], v180 offset:1408
	ds_load_b128 v[52:55], v180 offset:9152
	;; [unrolled: 1-line block ×9, first 2 shown]
	s_and_saveexec_b32 s2, vcc_lo
	s_cbranch_execz .LBB0_9
; %bb.8:
	ds_load_b128 v[40:43], v180 offset:7040
	ds_load_b128 v[48:51], v180 offset:14784
.LBB0_9:
	s_wait_alu 0xfffe
	s_or_b32 exec_lo, exec_lo, s2
	v_and_b32_e32 v4, 1, v24
	s_delay_alu instid0(VALU_DEP_1)
	v_lshlrev_b32_e32 v0, 4, v4
	v_and_or_b32 v1, 0x1fc, v101, v4
	v_and_or_b32 v2, 0x3fc, v102, v4
	;; [unrolled: 1-line block ×3, first 2 shown]
	scratch_store_b32 off, v4, off offset:328 ; 4-byte Folded Spill
	global_load_b128 v[44:47], v0, s[0:1]
	v_lshlrev_b32_e32 v0, 1, v92
	v_lshl_add_u32 v7, v1, 4, v181
	v_lshl_add_u32 v2, v2, 4, v181
	;; [unrolled: 1-line block ×3, first 2 shown]
	scratch_store_b32 off, v0, off          ; 4-byte Folded Spill
	v_and_or_b32 v0, 0xfc, v100, v4
	v_and_or_b32 v4, 0x3fc, v104, v4
	global_wb scope:SCOPE_SE
	s_wait_storecnt 0x0
	s_wait_loadcnt_dscnt 0x0
	s_barrier_signal -1
	s_barrier_wait -1
	v_lshl_add_u32 v8, v0, 4, v181
	v_lshl_add_u32 v0, v4, 4, v181
	global_inv scope:SCOPE_SE
	scratch_store_b32 off, v8, off offset:280 ; 4-byte Folded Spill
	v_mul_f64_e32 v[93:94], v[90:91], v[46:47]
	v_mul_f64_e32 v[95:96], v[88:89], v[46:47]
	;; [unrolled: 1-line block ×12, first 2 shown]
	v_fma_f64 v[88:89], v[88:89], v[44:45], -v[93:94]
	v_fma_f64 v[90:91], v[90:91], v[44:45], v[95:96]
	v_fma_f64 v[52:53], v[52:53], v[44:45], -v[97:98]
	v_fma_f64 v[54:55], v[54:55], v[44:45], v[105:106]
	;; [unrolled: 2-line block ×6, first 2 shown]
	v_add_f64_e64 v[76:77], v[56:57], -v[88:89]
	v_add_f64_e64 v[78:79], v[58:59], -v[90:91]
	;; [unrolled: 1-line block ×12, first 2 shown]
	v_fma_f64 v[56:57], v[56:57], 2.0, -v[76:77]
	v_fma_f64 v[58:59], v[58:59], 2.0, -v[78:79]
	;; [unrolled: 1-line block ×12, first 2 shown]
	ds_store_b128 v8, v[56:59]
	ds_store_b128 v8, v[76:79] offset:32
	ds_store_b128 v7, v[60:63]
	scratch_store_b32 off, v7, off offset:260 ; 4-byte Folded Spill
	ds_store_b128 v7, v[80:83] offset:32
	ds_store_b128 v2, v[68:71]
	scratch_store_b32 off, v2, off offset:256 ; 4-byte Folded Spill
	;; [unrolled: 3-line block ×4, first 2 shown]
	ds_store_b128 v0, v[93:96] offset:32
	s_and_saveexec_b32 s2, vcc_lo
	s_cbranch_execz .LBB0_11
; %bb.10:
	scratch_load_b32 v0, off, off           ; 4-byte Folded Reload
	v_and_b32_e32 v1, 1, v24
	s_wait_loadcnt 0x0
	s_delay_alu instid0(VALU_DEP_1) | instskip(NEXT) | instid1(VALU_DEP_1)
	v_and_or_b32 v0, 0x3fc, v0, v1
	v_lshl_add_u32 v0, v0, 4, v181
	ds_store_b128 v0, v[48:51]
	ds_store_b128 v0, v[52:55] offset:32
.LBB0_11:
	s_wait_alu 0xfffe
	s_or_b32 exec_lo, exec_lo, s2
	global_wb scope:SCOPE_SE
	s_wait_storecnt_dscnt 0x0
	s_barrier_signal -1
	s_barrier_wait -1
	global_inv scope:SCOPE_SE
	ds_load_b128 v[60:63], v180
	ds_load_b128 v[64:67], v180 offset:1408
	ds_load_b128 v[76:79], v180 offset:9152
	;; [unrolled: 1-line block ×9, first 2 shown]
	s_and_saveexec_b32 s2, vcc_lo
	s_cbranch_execz .LBB0_13
; %bb.12:
	ds_load_b128 v[48:51], v180 offset:7040
	ds_load_b128 v[52:55], v180 offset:14784
.LBB0_13:
	s_wait_alu 0xfffe
	s_or_b32 exec_lo, exec_lo, s2
	v_and_b32_e32 v185, 3, v24
	s_delay_alu instid0(VALU_DEP_1)
	v_lshlrev_b32_e32 v0, 4, v185
	v_and_or_b32 v4, 0x3f8, v104, v185
	global_load_b128 v[40:43], v0, s[0:1] offset:32
	s_wait_loadcnt_dscnt 0x3
	v_mul_f64_e32 v[96:97], v[94:95], v[42:43]
	v_mul_f64_e32 v[98:99], v[92:93], v[42:43]
	;; [unrolled: 1-line block ×4, first 2 shown]
	s_wait_dscnt 0x1
	v_mul_f64_e32 v[113:114], v[90:91], v[42:43]
	v_mul_f64_e32 v[115:116], v[88:89], v[42:43]
	;; [unrolled: 1-line block ×4, first 2 shown]
	s_wait_dscnt 0x0
	v_mul_f64_e32 v[117:118], v[86:87], v[42:43]
	v_mul_f64_e32 v[119:120], v[84:85], v[42:43]
	v_fma_f64 v[92:93], v[92:93], v[40:41], -v[96:97]
	v_fma_f64 v[94:95], v[94:95], v[40:41], v[98:99]
	v_fma_f64 v[96:97], v[76:77], v[40:41], -v[105:106]
	v_fma_f64 v[98:99], v[78:79], v[40:41], v[107:108]
	;; [unrolled: 2-line block ×3, first 2 shown]
	v_mul_f64_e32 v[113:114], v[54:55], v[42:43]
	v_mul_f64_e32 v[115:116], v[52:53], v[42:43]
	v_fma_f64 v[105:106], v[80:81], v[40:41], -v[109:110]
	v_fma_f64 v[107:108], v[82:83], v[40:41], v[111:112]
	v_fma_f64 v[109:110], v[84:85], v[40:41], -v[117:118]
	v_fma_f64 v[111:112], v[86:87], v[40:41], v[119:120]
	v_add_f64_e64 v[76:77], v[60:61], -v[92:93]
	v_add_f64_e64 v[78:79], v[62:63], -v[94:95]
	;; [unrolled: 1-line block ×6, first 2 shown]
	v_fma_f64 v[96:97], v[52:53], v[40:41], -v[113:114]
	v_fma_f64 v[98:99], v[54:55], v[40:41], v[115:116]
	v_add_f64_e64 v[84:85], v[72:73], -v[105:106]
	v_add_f64_e64 v[86:87], v[74:75], -v[107:108]
	;; [unrolled: 1-line block ×4, first 2 shown]
	v_fma_f64 v[52:53], v[60:61], 2.0, -v[76:77]
	v_fma_f64 v[54:55], v[62:63], 2.0, -v[78:79]
	;; [unrolled: 1-line block ×6, first 2 shown]
	v_add_f64_e64 v[0:1], v[48:49], -v[96:97]
	v_add_f64_e64 v[2:3], v[50:51], -v[98:99]
	v_fma_f64 v[64:65], v[72:73], 2.0, -v[84:85]
	v_fma_f64 v[66:67], v[74:75], 2.0, -v[86:87]
	;; [unrolled: 1-line block ×4, first 2 shown]
	s_clause 0x1
	scratch_store_b64 off, v[5:6], off offset:156
	scratch_store_b128 off, v[0:3], off offset:4
	v_and_or_b32 v0, 0xf8, v100, v185
	v_and_or_b32 v1, 0x1f8, v101, v185
	;; [unrolled: 1-line block ×4, first 2 shown]
	global_wb scope:SCOPE_SE
	s_wait_storecnt 0x0
	v_lshl_add_u32 v6, v0, 4, v181
	v_lshl_add_u32 v5, v1, 4, v181
	;; [unrolled: 1-line block ×5, first 2 shown]
	s_barrier_signal -1
	s_barrier_wait -1
	global_inv scope:SCOPE_SE
	ds_store_b128 v6, v[52:55]
	scratch_store_b32 off, v6, off offset:316 ; 4-byte Folded Spill
	ds_store_b128 v6, v[76:79] offset:64
	ds_store_b128 v5, v[60:63]
	scratch_store_b32 off, v5, off offset:312 ; 4-byte Folded Spill
	ds_store_b128 v5, v[80:83] offset:64
	;; [unrolled: 3-line block ×5, first 2 shown]
	s_and_saveexec_b32 s2, vcc_lo
	s_cbranch_execz .LBB0_15
; %bb.14:
	s_clause 0x1
	scratch_load_b128 v[1:4], off, off offset:4
	scratch_load_b32 v0, off, off
	s_wait_loadcnt 0x1
	v_fma_f64 v[50:51], v[50:51], 2.0, -v[3:4]
	v_fma_f64 v[48:49], v[48:49], 2.0, -v[1:2]
	s_wait_loadcnt 0x0
	v_and_or_b32 v0, 0x3f8, v0, v185
	s_delay_alu instid0(VALU_DEP_1)
	v_lshl_add_u32 v0, v0, 4, v181
	ds_store_b128 v0, v[48:51]
	ds_store_b128 v0, v[1:4] offset:64
.LBB0_15:
	s_wait_alu 0xfffe
	s_or_b32 exec_lo, exec_lo, s2
	v_and_b32_e32 v104, 7, v24
	global_wb scope:SCOPE_SE
	s_wait_storecnt_dscnt 0x0
	s_barrier_signal -1
	s_barrier_wait -1
	global_inv scope:SCOPE_SE
	v_mad_co_u64_u32 v[84:85], null, 0xa0, v104, s[0:1]
	s_mov_b32 s28, 0xf8bb580b
	s_mov_b32 s24, 0x8eee2c13
	;; [unrolled: 1-line block ×6, first 2 shown]
	s_clause 0x3
	global_load_b128 v[4:7], v[84:85], off offset:96
	global_load_b128 v[0:3], v[84:85], off offset:240
	;; [unrolled: 1-line block ×4, first 2 shown]
	ds_load_b128 v[64:67], v180 offset:1408
	ds_load_b128 v[105:108], v180
	ds_load_b128 v[68:71], v180 offset:14080
	s_mov_b32 s25, 0xbfed1bb4
	s_mov_b32 s23, 0xbfefac9e
	;; [unrolled: 1-line block ×22, first 2 shown]
	s_wait_loadcnt_dscnt 0x302
	v_mul_f64_e32 v[74:75], v[64:65], v[6:7]
	v_mul_f64_e32 v[72:73], v[66:67], v[6:7]
	s_wait_loadcnt_dscnt 0x200
	v_mul_f64_e32 v[76:77], v[68:69], v[2:3]
	s_clause 0x1
	scratch_store_b128 off, v[4:7], off offset:232
	scratch_store_b128 off, v[0:3], off offset:212
	v_fma_f64 v[119:120], v[66:67], v[4:5], v[74:75]
	v_mul_f64_e32 v[66:67], v[70:71], v[2:3]
	v_fma_f64 v[117:118], v[64:65], v[4:5], -v[72:73]
	v_fma_f64 v[64:65], v[70:71], v[0:1], v[76:77]
	s_delay_alu instid0(VALU_DEP_4) | instskip(NEXT) | instid1(VALU_DEP_4)
	v_add_f64_e32 v[208:209], v[107:108], v[119:120]
	v_fma_f64 v[66:67], v[68:69], v[0:1], -v[66:67]
	ds_load_b128 v[68:71], v180 offset:2816
	ds_load_b128 v[76:79], v180 offset:4224
	s_wait_loadcnt 0x1
	scratch_store_b128 off, v[8:11], off offset:264 ; 16-byte Folded Spill
	v_add_f64_e32 v[143:144], v[119:120], v[64:65]
	v_add_f64_e32 v[206:207], v[105:106], v[117:118]
	s_wait_dscnt 0x1
	v_mul_f64_e32 v[72:73], v[70:71], v[10:11]
	v_add_f64_e32 v[123:124], v[117:118], v[66:67]
	s_delay_alu instid0(VALU_DEP_2) | instskip(SKIP_1) | instid1(VALU_DEP_1)
	v_fma_f64 v[100:101], v[68:69], v[8:9], -v[72:73]
	v_mul_f64_e32 v[68:69], v[68:69], v[10:11]
	v_fma_f64 v[102:103], v[70:71], v[8:9], v[68:69]
	ds_load_b128 v[68:71], v180 offset:12672
	ds_load_b128 v[92:95], v180 offset:11264
	s_wait_loadcnt 0x0
	scratch_store_b128 off, v[12:15], off offset:292 ; 16-byte Folded Spill
	s_wait_dscnt 0x1
	v_mul_f64_e32 v[72:73], v[68:69], v[14:15]
	s_delay_alu instid0(VALU_DEP_1) | instskip(SKIP_1) | instid1(VALU_DEP_2)
	v_fma_f64 v[88:89], v[70:71], v[12:13], v[72:73]
	v_mul_f64_e32 v[70:71], v[70:71], v[14:15]
	v_add_f64_e32 v[216:217], v[102:103], v[88:89]
	s_delay_alu instid0(VALU_DEP_2)
	v_fma_f64 v[90:91], v[68:69], v[12:13], -v[70:71]
	s_clause 0x1
	global_load_b128 v[72:75], v[84:85], off offset:128
	global_load_b128 v[68:71], v[84:85], off offset:144
	v_add_f64_e32 v[210:211], v[100:101], v[90:91]
	v_add_f64_e64 v[214:215], v[100:101], -v[90:91]
	s_delay_alu instid0(VALU_DEP_1) | instskip(SKIP_4) | instid1(VALU_DEP_1)
	v_mul_f64_e32 v[218:219], s[24:25], v[214:215]
	v_mul_f64_e32 v[188:189], s[20:21], v[214:215]
	;; [unrolled: 1-line block ×3, first 2 shown]
	s_wait_loadcnt 0x1
	v_mul_f64_e32 v[80:81], v[78:79], v[74:75]
	v_fma_f64 v[145:146], v[76:77], v[72:73], -v[80:81]
	v_mul_f64_e32 v[76:77], v[76:77], v[74:75]
	s_delay_alu instid0(VALU_DEP_1)
	v_fma_f64 v[147:148], v[78:79], v[72:73], v[76:77]
	s_clause 0x1
	global_load_b128 v[80:83], v[84:85], off offset:208
	global_load_b128 v[76:79], v[84:85], off offset:192
	s_wait_loadcnt_dscnt 0x100
	v_mul_f64_e32 v[86:87], v[92:93], v[82:83]
	s_delay_alu instid0(VALU_DEP_1) | instskip(SKIP_1) | instid1(VALU_DEP_2)
	v_fma_f64 v[149:150], v[94:95], v[80:81], v[86:87]
	v_mul_f64_e32 v[86:87], v[94:95], v[82:83]
	v_add_f64_e64 v[220:221], v[147:148], -v[149:150]
	s_delay_alu instid0(VALU_DEP_2)
	v_fma_f64 v[151:152], v[92:93], v[80:81], -v[86:87]
	ds_load_b128 v[92:95], v180 offset:5632
	ds_load_b128 v[109:112], v180 offset:7040
	v_add_f64_e32 v[228:229], v[147:148], v[149:150]
	s_wait_dscnt 0x1
	v_mul_f64_e32 v[86:87], v[94:95], v[70:71]
	v_mul_f64_e32 v[224:225], s[22:23], v[220:221]
	v_add_f64_e32 v[222:223], v[145:146], v[151:152]
	v_add_f64_e64 v[226:227], v[145:146], -v[151:152]
	v_mul_f64_e32 v[190:191], s[38:39], v[220:221]
	v_mul_f64_e32 v[183:184], s[34:35], v[220:221]
	v_fma_f64 v[153:154], v[92:93], v[68:69], -v[86:87]
	v_mul_f64_e32 v[86:87], v[92:93], v[70:71]
	v_mul_f64_e32 v[230:231], s[22:23], v[226:227]
	;; [unrolled: 1-line block ×5, first 2 shown]
	v_fma_f64 v[155:156], v[94:95], v[68:69], v[86:87]
	ds_load_b128 v[92:95], v180 offset:9856
	ds_load_b128 v[113:116], v180 offset:8448
	s_wait_loadcnt_dscnt 0x1
	v_mul_f64_e32 v[86:87], v[94:95], v[78:79]
	s_wait_alu 0xfffe
	v_fma_f64 v[2:3], v[228:229], s[12:13], v[0:1]
	v_fma_f64 v[14:15], v[228:229], s[26:27], v[12:13]
	v_fma_f64 v[12:13], v[228:229], s[26:27], -v[12:13]
	v_fma_f64 v[0:1], v[228:229], s[12:13], -v[0:1]
	;; [unrolled: 1-line block ×3, first 2 shown]
	v_mul_f64_e32 v[86:87], v[92:93], v[78:79]
	s_delay_alu instid0(VALU_DEP_2) | instskip(NEXT) | instid1(VALU_DEP_2)
	v_add_f64_e32 v[234:235], v[153:154], v[157:158]
	v_fma_f64 v[159:160], v[94:95], v[76:77], v[86:87]
	s_clause 0x1
	global_load_b128 v[92:95], v[84:85], off offset:160
	global_load_b128 v[84:87], v[84:85], off offset:176
	v_add_f64_e64 v[238:239], v[153:154], -v[157:158]
	global_wb scope:SCOPE_SE
	s_wait_storecnt 0x0
	s_wait_loadcnt_dscnt 0x0
	s_barrier_signal -1
	s_barrier_wait -1
	global_inv scope:SCOPE_SE
	v_add_f64_e64 v[232:233], v[155:156], -v[159:160]
	v_add_f64_e32 v[240:241], v[155:156], v[159:160]
	v_mul_f64_e32 v[242:243], s[20:21], v[238:239]
	v_mul_f64_e32 v[196:197], s[36:37], v[238:239]
	;; [unrolled: 1-line block ×8, first 2 shown]
	v_fma_f64 v[10:11], v[240:241], s[26:27], v[8:9]
	v_fma_f64 v[22:23], v[240:241], s[2:3], v[20:21]
	s_delay_alu instid0(VALU_DEP_4) | instskip(NEXT) | instid1(VALU_DEP_4)
	v_fma_f64 v[6:7], v[234:235], s[26:27], -v[4:5]
	v_fma_f64 v[18:19], v[234:235], s[2:3], -v[16:17]
	v_fma_f64 v[4:5], v[234:235], s[26:27], v[4:5]
	v_mul_f64_e32 v[121:122], v[111:112], v[94:95]
	s_delay_alu instid0(VALU_DEP_1) | instskip(SKIP_1) | instid1(VALU_DEP_1)
	v_fma_f64 v[161:162], v[109:110], v[92:93], -v[121:122]
	v_mul_f64_e32 v[109:110], v[109:110], v[94:95]
	v_fma_f64 v[163:164], v[111:112], v[92:93], v[109:110]
	v_mul_f64_e32 v[109:110], v[115:116], v[86:87]
	s_delay_alu instid0(VALU_DEP_1) | instskip(SKIP_1) | instid1(VALU_DEP_2)
	v_fma_f64 v[165:166], v[113:114], v[84:85], -v[109:110]
	v_mul_f64_e32 v[109:110], v[113:114], v[86:87]
	v_add_f64_e32 v[246:247], v[161:162], v[165:166]
	s_delay_alu instid0(VALU_DEP_2) | instskip(SKIP_2) | instid1(VALU_DEP_3)
	v_fma_f64 v[167:168], v[115:116], v[84:85], v[109:110]
	v_add_f64_e64 v[109:110], v[119:120], -v[64:65]
	v_add_f64_e64 v[250:251], v[161:162], -v[165:166]
	;; [unrolled: 1-line block ×3, first 2 shown]
	s_delay_alu instid0(VALU_DEP_3)
	v_mul_f64_e32 v[111:112], s[28:29], v[109:110]
	v_mul_f64_e32 v[113:114], s[24:25], v[109:110]
	v_mul_f64_e32 v[115:116], s[22:23], v[109:110]
	v_mul_f64_e32 v[121:122], s[20:21], v[109:110]
	v_mul_f64_e32 v[109:110], s[18:19], v[109:110]
	v_add_f64_e32 v[252:253], v[163:164], v[167:168]
	v_mul_f64_e32 v[254:255], s[18:19], v[250:251]
	v_mul_f64_e32 v[200:201], s[30:31], v[250:251]
	;; [unrolled: 1-line block ×3, first 2 shown]
	v_fma_f64 v[125:126], v[123:124], s[26:27], -v[111:112]
	v_fma_f64 v[111:112], v[123:124], s[26:27], v[111:112]
	v_fma_f64 v[127:128], v[123:124], s[12:13], -v[113:114]
	v_fma_f64 v[113:114], v[123:124], s[12:13], v[113:114]
	;; [unrolled: 2-line block ×5, first 2 shown]
	v_add_f64_e64 v[123:124], v[117:118], -v[66:67]
	v_mul_f64_e32 v[198:199], s[30:31], v[244:245]
	v_add_f64_e32 v[111:112], v[105:106], v[111:112]
	v_add_f64_e32 v[119:120], v[105:106], v[127:128]
	s_delay_alu instid0(VALU_DEP_4)
	v_mul_f64_e32 v[135:136], s[28:29], v[123:124]
	v_mul_f64_e32 v[137:138], s[24:25], v[123:124]
	;; [unrolled: 1-line block ×5, first 2 shown]
	v_fma_f64 v[169:170], v[143:144], s[26:27], v[135:136]
	v_fma_f64 v[135:136], v[143:144], s[26:27], -v[135:136]
	v_fma_f64 v[173:174], v[143:144], s[14:15], v[139:140]
	v_fma_f64 v[171:172], v[143:144], s[12:13], v[137:138]
	v_fma_f64 v[204:205], v[143:144], s[2:3], v[123:124]
	v_fma_f64 v[123:124], v[143:144], s[2:3], -v[123:124]
	v_fma_f64 v[202:203], v[143:144], s[10:11], v[141:142]
	v_fma_f64 v[137:138], v[143:144], s[12:13], -v[137:138]
	v_fma_f64 v[139:140], v[143:144], s[14:15], -v[139:140]
	;; [unrolled: 1-line block ×3, first 2 shown]
	v_add_f64_e32 v[143:144], v[105:106], v[125:126]
	v_add_f64_e32 v[169:170], v[107:108], v[169:170]
	;; [unrolled: 1-line block ×8, first 2 shown]
	v_add_f64_e64 v[123:124], v[102:103], -v[88:89]
	v_add_f64_e32 v[125:126], v[107:108], v[171:172]
	v_add_f64_e32 v[171:172], v[105:106], v[113:114]
	;; [unrolled: 1-line block ×10, first 2 shown]
	v_fma_f64 v[107:108], v[216:217], s[12:13], -v[218:219]
	v_fma_f64 v[109:110], v[222:223], s[14:15], v[224:225]
	v_fma_f64 v[115:116], v[222:223], s[2:3], -v[190:191]
	v_mul_f64_e32 v[212:213], s[24:25], v[123:124]
	v_mul_f64_e32 v[186:187], s[20:21], v[123:124]
	;; [unrolled: 1-line block ×3, first 2 shown]
	v_add_f64_e32 v[107:108], v[107:108], v[117:118]
	v_fma_f64 v[117:118], v[222:223], s[12:13], -v[183:184]
	v_fma_f64 v[105:106], v[210:211], s[12:13], v[212:213]
	s_delay_alu instid0(VALU_DEP_1) | instskip(SKIP_1) | instid1(VALU_DEP_2)
	v_add_f64_e32 v[105:106], v[105:106], v[111:112]
	v_fma_f64 v[111:112], v[216:217], s[10:11], v[188:189]
	v_add_f64_e32 v[105:106], v[109:110], v[105:106]
	v_fma_f64 v[109:110], v[228:229], s[14:15], -v[230:231]
	s_delay_alu instid0(VALU_DEP_3) | instskip(NEXT) | instid1(VALU_DEP_2)
	v_add_f64_e32 v[111:112], v[111:112], v[125:126]
	v_add_f64_e32 v[107:108], v[109:110], v[107:108]
	v_fma_f64 v[109:110], v[234:235], s[10:11], v[236:237]
	s_delay_alu instid0(VALU_DEP_1) | instskip(SKIP_1) | instid1(VALU_DEP_1)
	v_add_f64_e32 v[105:106], v[109:110], v[105:106]
	v_fma_f64 v[109:110], v[240:241], s[10:11], -v[242:243]
	v_add_f64_e32 v[107:108], v[109:110], v[107:108]
	v_fma_f64 v[109:110], v[246:247], s[2:3], v[248:249]
	s_delay_alu instid0(VALU_DEP_1) | instskip(SKIP_1) | instid1(VALU_DEP_1)
	v_add_f64_e32 v[105:106], v[109:110], v[105:106]
	v_fma_f64 v[109:110], v[252:253], s[2:3], -v[254:255]
	v_add_f64_e32 v[107:108], v[109:110], v[107:108]
	v_fma_f64 v[109:110], v[210:211], s[10:11], -v[186:187]
	s_delay_alu instid0(VALU_DEP_1) | instskip(NEXT) | instid1(VALU_DEP_1)
	v_add_f64_e32 v[109:110], v[109:110], v[119:120]
	v_add_f64_e32 v[109:110], v[115:116], v[109:110]
	v_fma_f64 v[115:116], v[228:229], s[2:3], v[192:193]
	s_delay_alu instid0(VALU_DEP_1) | instskip(SKIP_1) | instid1(VALU_DEP_1)
	v_add_f64_e32 v[111:112], v[115:116], v[111:112]
	v_fma_f64 v[115:116], v[234:235], s[14:15], -v[194:195]
	v_add_f64_e32 v[109:110], v[115:116], v[109:110]
	v_fma_f64 v[115:116], v[240:241], s[14:15], v[196:197]
	s_delay_alu instid0(VALU_DEP_1) | instskip(SKIP_1) | instid1(VALU_DEP_1)
	v_add_f64_e32 v[111:112], v[115:116], v[111:112]
	v_fma_f64 v[115:116], v[246:247], s[26:27], -v[198:199]
	;; [unrolled: 5-line block ×3, first 2 shown]
	v_add_f64_e32 v[113:114], v[115:116], v[113:114]
	v_fma_f64 v[115:116], v[216:217], s[2:3], v[177:178]
	s_delay_alu instid0(VALU_DEP_2) | instskip(NEXT) | instid1(VALU_DEP_2)
	v_add_f64_e32 v[113:114], v[117:118], v[113:114]
	v_add_f64_e32 v[115:116], v[115:116], v[127:128]
	v_mul_f64_e32 v[127:128], s[20:21], v[220:221]
	s_delay_alu instid0(VALU_DEP_3) | instskip(NEXT) | instid1(VALU_DEP_3)
	v_add_f64_e32 v[6:7], v[6:7], v[113:114]
	v_add_f64_e32 v[2:3], v[2:3], v[115:116]
	s_delay_alu instid0(VALU_DEP_1) | instskip(SKIP_1) | instid1(VALU_DEP_1)
	v_add_f64_e32 v[2:3], v[10:11], v[2:3]
	v_mul_f64_e32 v[10:11], s[20:21], v[244:245]
	v_fma_f64 v[113:114], v[246:247], s[10:11], -v[10:11]
	s_delay_alu instid0(VALU_DEP_1) | instskip(SKIP_1) | instid1(VALU_DEP_1)
	v_add_f64_e32 v[113:114], v[113:114], v[6:7]
	v_mul_f64_e32 v[6:7], s[20:21], v[250:251]
	v_fma_f64 v[115:116], v[252:253], s[10:11], v[6:7]
	v_fma_f64 v[6:7], v[252:253], s[10:11], -v[6:7]
	s_delay_alu instid0(VALU_DEP_2) | instskip(SKIP_1) | instid1(VALU_DEP_1)
	v_add_f64_e32 v[115:116], v[115:116], v[2:3]
	v_mul_f64_e32 v[2:3], s[36:37], v[123:124]
	v_fma_f64 v[117:118], v[210:211], s[14:15], -v[2:3]
	v_fma_f64 v[2:3], v[210:211], s[14:15], v[2:3]
	s_delay_alu instid0(VALU_DEP_2) | instskip(SKIP_1) | instid1(VALU_DEP_3)
	v_add_f64_e32 v[117:118], v[117:118], v[129:130]
	v_mul_f64_e32 v[129:130], s[36:37], v[214:215]
	v_add_f64_e32 v[2:3], v[2:3], v[173:174]
	s_delay_alu instid0(VALU_DEP_2) | instskip(NEXT) | instid1(VALU_DEP_1)
	v_fma_f64 v[119:120], v[216:217], s[14:15], v[129:130]
	v_add_f64_e32 v[119:120], v[119:120], v[131:132]
	v_mul_f64_e32 v[131:132], s[28:29], v[220:221]
	s_delay_alu instid0(VALU_DEP_2) | instskip(NEXT) | instid1(VALU_DEP_2)
	v_add_f64_e32 v[14:15], v[14:15], v[119:120]
	v_fma_f64 v[125:126], v[222:223], s[26:27], -v[131:132]
	s_delay_alu instid0(VALU_DEP_2) | instskip(NEXT) | instid1(VALU_DEP_2)
	v_add_f64_e32 v[14:15], v[22:23], v[14:15]
	v_add_f64_e32 v[117:118], v[125:126], v[117:118]
	v_mul_f64_e32 v[22:23], s[34:35], v[244:245]
	v_mul_f64_e32 v[125:126], s[30:31], v[214:215]
	s_delay_alu instid0(VALU_DEP_3) | instskip(NEXT) | instid1(VALU_DEP_3)
	v_add_f64_e32 v[18:19], v[18:19], v[117:118]
	v_fma_f64 v[117:118], v[246:247], s[12:13], -v[22:23]
	s_delay_alu instid0(VALU_DEP_1) | instskip(SKIP_1) | instid1(VALU_DEP_1)
	v_add_f64_e32 v[117:118], v[117:118], v[18:19]
	v_mul_f64_e32 v[18:19], s[34:35], v[250:251]
	v_fma_f64 v[119:120], v[252:253], s[12:13], v[18:19]
	s_delay_alu instid0(VALU_DEP_1) | instskip(SKIP_1) | instid1(VALU_DEP_1)
	v_add_f64_e32 v[119:120], v[119:120], v[14:15]
	v_mul_f64_e32 v[14:15], s[30:31], v[123:124]
	v_fma_f64 v[123:124], v[210:211], s[26:27], -v[14:15]
	v_fma_f64 v[14:15], v[210:211], s[26:27], v[14:15]
	s_delay_alu instid0(VALU_DEP_2) | instskip(SKIP_1) | instid1(VALU_DEP_3)
	v_add_f64_e32 v[121:122], v[123:124], v[121:122]
	v_fma_f64 v[123:124], v[216:217], s[26:27], v[125:126]
	v_add_f64_e32 v[14:15], v[14:15], v[202:203]
	v_fma_f64 v[125:126], v[216:217], s[26:27], -v[125:126]
	s_delay_alu instid0(VALU_DEP_3) | instskip(SKIP_2) | instid1(VALU_DEP_4)
	v_add_f64_e32 v[123:124], v[123:124], v[133:134]
	v_fma_f64 v[133:134], v[222:223], s[10:11], -v[127:128]
	v_fma_f64 v[127:128], v[222:223], s[10:11], v[127:128]
	v_add_f64_e32 v[125:126], v[125:126], v[204:205]
	s_delay_alu instid0(VALU_DEP_3) | instskip(SKIP_1) | instid1(VALU_DEP_4)
	v_add_f64_e32 v[121:122], v[133:134], v[121:122]
	v_mul_f64_e32 v[133:134], s[20:21], v[226:227]
	v_add_f64_e32 v[14:15], v[127:128], v[14:15]
	s_delay_alu instid0(VALU_DEP_2) | instskip(SKIP_1) | instid1(VALU_DEP_2)
	v_fma_f64 v[214:215], v[228:229], s[10:11], v[133:134]
	v_fma_f64 v[127:128], v[228:229], s[10:11], -v[133:134]
	v_add_f64_e32 v[123:124], v[214:215], v[123:124]
	v_mul_f64_e32 v[214:215], s[34:35], v[232:233]
	s_delay_alu instid0(VALU_DEP_3) | instskip(SKIP_1) | instid1(VALU_DEP_3)
	v_add_f64_e32 v[125:126], v[127:128], v[125:126]
	v_mul_f64_e32 v[232:233], s[22:23], v[250:251]
	v_fma_f64 v[220:221], v[234:235], s[12:13], -v[214:215]
	v_fma_f64 v[127:128], v[234:235], s[12:13], v[214:215]
	s_delay_alu instid0(VALU_DEP_3) | instskip(NEXT) | instid1(VALU_DEP_3)
	v_fma_f64 v[133:134], v[252:253], s[14:15], -v[232:233]
	v_add_f64_e32 v[121:122], v[220:221], v[121:122]
	v_mul_f64_e32 v[220:221], s[34:35], v[238:239]
	s_delay_alu instid0(VALU_DEP_4) | instskip(NEXT) | instid1(VALU_DEP_2)
	v_add_f64_e32 v[14:15], v[127:128], v[14:15]
	v_fma_f64 v[226:227], v[240:241], s[12:13], v[220:221]
	v_fma_f64 v[127:128], v[240:241], s[12:13], -v[220:221]
	s_delay_alu instid0(VALU_DEP_2) | instskip(SKIP_1) | instid1(VALU_DEP_3)
	v_add_f64_e32 v[123:124], v[226:227], v[123:124]
	v_mul_f64_e32 v[226:227], s[22:23], v[244:245]
	v_add_f64_e32 v[127:128], v[127:128], v[125:126]
	s_delay_alu instid0(VALU_DEP_2) | instskip(NEXT) | instid1(VALU_DEP_2)
	v_fma_f64 v[125:126], v[246:247], s[14:15], v[226:227]
	v_add_f64_e32 v[127:128], v[133:134], v[127:128]
	v_fma_f64 v[238:239], v[246:247], s[14:15], -v[226:227]
	s_delay_alu instid0(VALU_DEP_3) | instskip(SKIP_2) | instid1(VALU_DEP_4)
	v_add_f64_e32 v[125:126], v[125:126], v[14:15]
	v_fma_f64 v[14:15], v[216:217], s[14:15], -v[129:130]
	v_fma_f64 v[129:130], v[222:223], s[26:27], v[131:132]
	v_add_f64_e32 v[121:122], v[238:239], v[121:122]
	v_fma_f64 v[238:239], v[252:253], s[14:15], v[232:233]
	s_delay_alu instid0(VALU_DEP_4) | instskip(NEXT) | instid1(VALU_DEP_4)
	v_add_f64_e32 v[14:15], v[14:15], v[141:142]
	v_add_f64_e32 v[2:3], v[129:130], v[2:3]
	s_delay_alu instid0(VALU_DEP_3) | instskip(NEXT) | instid1(VALU_DEP_3)
	v_add_f64_e32 v[123:124], v[238:239], v[123:124]
	v_add_f64_e32 v[12:13], v[12:13], v[14:15]
	v_fma_f64 v[14:15], v[234:235], s[2:3], v[16:17]
	v_fma_f64 v[16:17], v[252:253], s[12:13], -v[18:19]
	s_delay_alu instid0(VALU_DEP_2) | instskip(SKIP_1) | instid1(VALU_DEP_1)
	v_add_f64_e32 v[2:3], v[14:15], v[2:3]
	v_fma_f64 v[14:15], v[240:241], s[2:3], -v[20:21]
	v_add_f64_e32 v[12:13], v[14:15], v[12:13]
	v_fma_f64 v[14:15], v[246:247], s[12:13], v[22:23]
	s_delay_alu instid0(VALU_DEP_2) | instskip(NEXT) | instid1(VALU_DEP_2)
	v_add_f64_e32 v[131:132], v[16:17], v[12:13]
	v_add_f64_e32 v[129:130], v[14:15], v[2:3]
	v_fma_f64 v[2:3], v[210:211], s[2:3], v[175:176]
	v_fma_f64 v[12:13], v[216:217], s[2:3], -v[177:178]
	v_fma_f64 v[14:15], v[222:223], s[12:13], v[183:184]
	s_delay_alu instid0(VALU_DEP_3) | instskip(NEXT) | instid1(VALU_DEP_3)
	v_add_f64_e32 v[2:3], v[2:3], v[135:136]
	v_add_f64_e32 v[12:13], v[12:13], v[139:140]
	s_delay_alu instid0(VALU_DEP_2) | instskip(NEXT) | instid1(VALU_DEP_2)
	v_add_f64_e32 v[2:3], v[14:15], v[2:3]
	v_add_f64_e32 v[0:1], v[0:1], v[12:13]
	s_delay_alu instid0(VALU_DEP_2) | instskip(SKIP_2) | instid1(VALU_DEP_2)
	v_add_f64_e32 v[2:3], v[4:5], v[2:3]
	v_fma_f64 v[4:5], v[240:241], s[26:27], -v[8:9]
	v_fma_f64 v[8:9], v[234:235], s[10:11], -v[236:237]
	v_add_f64_e32 v[0:1], v[4:5], v[0:1]
	v_fma_f64 v[4:5], v[246:247], s[10:11], v[10:11]
	v_fma_f64 v[10:11], v[240:241], s[10:11], v[242:243]
	s_delay_alu instid0(VALU_DEP_3) | instskip(SKIP_1) | instid1(VALU_DEP_4)
	v_add_f64_e32 v[135:136], v[6:7], v[0:1]
	v_fma_f64 v[0:1], v[210:211], s[10:11], v[186:187]
	v_add_f64_e32 v[133:134], v[4:5], v[2:3]
	v_fma_f64 v[2:3], v[216:217], s[10:11], -v[188:189]
	v_fma_f64 v[4:5], v[222:223], s[2:3], v[190:191]
	v_fma_f64 v[6:7], v[252:253], s[26:27], -v[200:201]
	v_add_f64_e32 v[0:1], v[0:1], v[171:172]
	s_delay_alu instid0(VALU_DEP_4) | instskip(NEXT) | instid1(VALU_DEP_2)
	v_add_f64_e32 v[2:3], v[2:3], v[137:138]
	v_add_f64_e32 v[0:1], v[4:5], v[0:1]
	v_fma_f64 v[4:5], v[228:229], s[2:3], -v[192:193]
	s_delay_alu instid0(VALU_DEP_1) | instskip(SKIP_1) | instid1(VALU_DEP_1)
	v_add_f64_e32 v[2:3], v[4:5], v[2:3]
	v_fma_f64 v[4:5], v[234:235], s[14:15], v[194:195]
	v_add_f64_e32 v[0:1], v[4:5], v[0:1]
	v_fma_f64 v[4:5], v[240:241], s[14:15], -v[196:197]
	s_delay_alu instid0(VALU_DEP_1) | instskip(SKIP_1) | instid1(VALU_DEP_2)
	v_add_f64_e32 v[2:3], v[4:5], v[2:3]
	v_fma_f64 v[4:5], v[246:247], s[26:27], v[198:199]
	v_add_f64_e32 v[139:140], v[6:7], v[2:3]
	s_delay_alu instid0(VALU_DEP_2) | instskip(SKIP_4) | instid1(VALU_DEP_4)
	v_add_f64_e32 v[137:138], v[4:5], v[0:1]
	v_fma_f64 v[0:1], v[210:211], s[12:13], -v[212:213]
	v_fma_f64 v[2:3], v[216:217], s[12:13], v[218:219]
	v_fma_f64 v[4:5], v[222:223], s[14:15], -v[224:225]
	v_fma_f64 v[6:7], v[228:229], s[14:15], v[230:231]
	v_add_f64_e32 v[0:1], v[0:1], v[143:144]
	s_delay_alu instid0(VALU_DEP_4) | instskip(NEXT) | instid1(VALU_DEP_2)
	v_add_f64_e32 v[2:3], v[2:3], v[169:170]
	v_add_f64_e32 v[0:1], v[4:5], v[0:1]
	s_delay_alu instid0(VALU_DEP_2)
	v_add_f64_e32 v[2:3], v[6:7], v[2:3]
	v_fma_f64 v[4:5], v[246:247], s[2:3], -v[248:249]
	v_fma_f64 v[6:7], v[252:253], s[2:3], v[254:255]
	v_mov_b32_e32 v255, v24
	v_add_f64_e32 v[0:1], v[8:9], v[0:1]
	v_add_f64_e32 v[2:3], v[10:11], v[2:3]
	s_delay_alu instid0(VALU_DEP_2) | instskip(NEXT) | instid1(VALU_DEP_2)
	v_add_f64_e32 v[141:142], v[4:5], v[0:1]
	v_add_f64_e32 v[143:144], v[6:7], v[2:3]
	;; [unrolled: 1-line block ×4, first 2 shown]
	s_delay_alu instid0(VALU_DEP_2) | instskip(NEXT) | instid1(VALU_DEP_2)
	v_add_f64_e32 v[0:1], v[0:1], v[145:146]
	v_add_f64_e32 v[2:3], v[2:3], v[147:148]
	s_delay_alu instid0(VALU_DEP_2) | instskip(NEXT) | instid1(VALU_DEP_2)
	v_add_f64_e32 v[0:1], v[0:1], v[153:154]
	v_add_f64_e32 v[2:3], v[2:3], v[155:156]
	;; [unrolled: 3-line block ×8, first 2 shown]
	v_lshrrev_b32_e32 v0, 3, v24
	s_delay_alu instid0(VALU_DEP_1) | instskip(NEXT) | instid1(VALU_DEP_1)
	v_mul_u32_u24_e32 v0, 0x58, v0
	v_or_b32_e32 v0, v0, v104
	s_delay_alu instid0(VALU_DEP_1)
	v_lshl_add_u32 v202, v0, 4, v181
	ds_store_b128 v202, v[109:112] offset:256
	ds_store_b128 v202, v[113:116] offset:384
	;; [unrolled: 1-line block ×10, first 2 shown]
	ds_store_b128 v202, v[88:91]
	v_mad_co_u64_u32 v[124:125], null, 0xa0, v24, s[0:1]
	global_wb scope:SCOPE_SE
	s_wait_dscnt 0x0
	s_barrier_signal -1
	s_barrier_wait -1
	global_inv scope:SCOPE_SE
	ds_load_b128 v[100:103], v180 offset:1408
	ds_load_b128 v[203:206], v180
	s_clause 0x1
	global_load_b128 v[64:67], v[124:125], off offset:1376
	global_load_b128 v[88:91], v[124:125], off offset:1392
	s_add_nc_u64 s[0:1], s[16:17], 0x3c80
	s_wait_loadcnt_dscnt 0x101
	v_mul_f64_e32 v[0:1], v[102:103], v[66:67]
	v_mul_f64_e32 v[2:3], v[100:101], v[66:67]
	s_delay_alu instid0(VALU_DEP_2) | instskip(NEXT) | instid1(VALU_DEP_2)
	v_fma_f64 v[0:1], v[100:101], v[64:65], -v[0:1]
	v_fma_f64 v[2:3], v[102:103], v[64:65], v[2:3]
	s_clause 0x1
	global_load_b128 v[104:107], v[124:125], off offset:1520
	global_load_b128 v[100:103], v[124:125], off offset:1504
	ds_load_b128 v[108:111], v180 offset:14080
	s_wait_loadcnt_dscnt 0x100
	v_mul_f64_e32 v[4:5], v[108:109], v[106:107]
	s_delay_alu instid0(VALU_DEP_1) | instskip(SKIP_1) | instid1(VALU_DEP_2)
	v_fma_f64 v[132:133], v[110:111], v[104:105], v[4:5]
	v_mul_f64_e32 v[4:5], v[110:111], v[106:107]
	v_add_f64_e32 v[183:184], v[2:3], v[132:133]
	s_delay_alu instid0(VALU_DEP_2)
	v_fma_f64 v[134:135], v[108:109], v[104:105], -v[4:5]
	ds_load_b128 v[108:111], v180 offset:2816
	ds_load_b128 v[116:119], v180 offset:4224
	s_wait_dscnt 0x1
	v_mul_f64_e32 v[4:5], v[110:111], v[90:91]
	v_add_f64_e32 v[14:15], v[0:1], v[134:135]
	s_delay_alu instid0(VALU_DEP_2) | instskip(SKIP_1) | instid1(VALU_DEP_1)
	v_fma_f64 v[140:141], v[108:109], v[88:89], -v[4:5]
	v_mul_f64_e32 v[4:5], v[108:109], v[90:91]
	v_fma_f64 v[142:143], v[110:111], v[88:89], v[4:5]
	ds_load_b128 v[108:111], v180 offset:12672
	ds_load_b128 v[126:129], v180 offset:11264
	s_wait_loadcnt_dscnt 0x1
	v_mul_f64_e32 v[4:5], v[108:109], v[102:103]
	s_delay_alu instid0(VALU_DEP_1) | instskip(SKIP_1) | instid1(VALU_DEP_2)
	v_fma_f64 v[136:137], v[110:111], v[100:101], v[4:5]
	v_mul_f64_e32 v[4:5], v[110:111], v[102:103]
	v_add_f64_e32 v[239:240], v[142:143], v[136:137]
	s_delay_alu instid0(VALU_DEP_2)
	v_fma_f64 v[138:139], v[108:109], v[100:101], -v[4:5]
	s_clause 0x1
	global_load_b128 v[112:115], v[124:125], off offset:1408
	global_load_b128 v[108:111], v[124:125], off offset:1424
	s_wait_loadcnt 0x1
	v_mul_f64_e32 v[4:5], v[118:119], v[114:115]
	s_delay_alu instid0(VALU_DEP_1) | instskip(SKIP_1) | instid1(VALU_DEP_1)
	v_fma_f64 v[148:149], v[116:117], v[112:113], -v[4:5]
	v_mul_f64_e32 v[4:5], v[116:117], v[114:115]
	v_fma_f64 v[150:151], v[118:119], v[112:113], v[4:5]
	s_clause 0x1
	global_load_b128 v[120:123], v[124:125], off offset:1488
	global_load_b128 v[116:119], v[124:125], off offset:1472
	s_wait_loadcnt_dscnt 0x100
	v_mul_f64_e32 v[4:5], v[126:127], v[122:123]
	s_delay_alu instid0(VALU_DEP_1) | instskip(SKIP_1) | instid1(VALU_DEP_2)
	v_fma_f64 v[144:145], v[128:129], v[120:121], v[4:5]
	v_mul_f64_e32 v[4:5], v[128:129], v[122:123]
	v_add_f64_e64 v[235:236], v[150:151], -v[144:145]
	s_delay_alu instid0(VALU_DEP_2)
	v_fma_f64 v[146:147], v[126:127], v[120:121], -v[4:5]
	ds_load_b128 v[126:129], v180 offset:5632
	ds_load_b128 v[158:161], v180 offset:7040
	v_add_f64_e32 v[243:244], v[150:151], v[144:145]
	s_wait_dscnt 0x1
	v_mul_f64_e32 v[4:5], v[128:129], v[110:111]
	v_mul_f64_e32 v[233:234], s[38:39], v[235:236]
	v_add_f64_e32 v[241:242], v[148:149], v[146:147]
	v_add_f64_e64 v[237:238], v[148:149], -v[146:147]
	v_mul_f64_e32 v[229:230], s[34:35], v[235:236]
	v_mul_f64_e32 v[225:226], s[28:29], v[235:236]
	;; [unrolled: 1-line block ×3, first 2 shown]
	v_fma_f64 v[152:153], v[126:127], v[108:109], -v[4:5]
	v_mul_f64_e32 v[4:5], v[126:127], v[110:111]
	v_mul_f64_e32 v[245:246], s[38:39], v[237:238]
	;; [unrolled: 1-line block ×4, first 2 shown]
	s_delay_alu instid0(VALU_DEP_4)
	v_fma_f64 v[154:155], v[128:129], v[108:109], v[4:5]
	s_clause 0x1
	global_load_b128 v[128:131], v[124:125], off offset:1440
	global_load_b128 v[124:127], v[124:125], off offset:1456
	ds_load_b128 v[162:165], v180 offset:8448
	ds_load_b128 v[166:169], v180 offset:9856
	v_fma_f64 v[38:39], v[243:244], s[12:13], v[36:37]
	s_wait_loadcnt_dscnt 0x102
	v_mul_f64_e32 v[4:5], v[160:161], v[130:131]
	s_delay_alu instid0(VALU_DEP_1) | instskip(SKIP_1) | instid1(VALU_DEP_1)
	v_fma_f64 v[156:157], v[158:159], v[128:129], -v[4:5]
	v_mul_f64_e32 v[4:5], v[158:159], v[130:131]
	v_fma_f64 v[158:159], v[160:161], v[128:129], v[4:5]
	s_wait_loadcnt_dscnt 0x1
	v_mul_f64_e32 v[4:5], v[164:165], v[126:127]
	s_delay_alu instid0(VALU_DEP_1) | instskip(SKIP_1) | instid1(VALU_DEP_2)
	v_fma_f64 v[160:161], v[162:163], v[124:125], -v[4:5]
	v_mul_f64_e32 v[4:5], v[162:163], v[126:127]
	v_add_f64_e32 v[28:29], v[156:157], v[160:161]
	s_delay_alu instid0(VALU_DEP_2) | instskip(SKIP_2) | instid1(VALU_DEP_2)
	v_fma_f64 v[162:163], v[164:165], v[124:125], v[4:5]
	s_wait_dscnt 0x0
	v_mul_f64_e32 v[4:5], v[168:169], v[118:119]
	v_add_f64_e32 v[32:33], v[158:159], v[162:163]
	s_delay_alu instid0(VALU_DEP_2) | instskip(SKIP_1) | instid1(VALU_DEP_2)
	v_fma_f64 v[164:165], v[166:167], v[116:117], -v[4:5]
	v_mul_f64_e32 v[4:5], v[166:167], v[118:119]
	v_add_f64_e64 v[253:254], v[152:153], -v[164:165]
	s_delay_alu instid0(VALU_DEP_2) | instskip(SKIP_2) | instid1(VALU_DEP_4)
	v_fma_f64 v[166:167], v[168:169], v[116:117], v[4:5]
	v_add_f64_e64 v[4:5], v[2:3], -v[132:133]
	v_add_f64_e32 v[249:250], v[152:153], v[164:165]
	v_mul_f64_e32 v[24:25], s[36:37], v[253:254]
	s_delay_alu instid0(VALU_DEP_4) | instskip(NEXT) | instid1(VALU_DEP_4)
	v_add_f64_e32 v[178:179], v[154:155], v[166:167]
	v_mul_f64_e32 v[6:7], s[28:29], v[4:5]
	v_mul_f64_e32 v[8:9], s[24:25], v[4:5]
	;; [unrolled: 1-line block ×5, first 2 shown]
	v_add_f64_e64 v[247:248], v[154:155], -v[166:167]
	v_mul_f64_e32 v[96:97], s[28:29], v[253:254]
	v_fma_f64 v[26:27], v[178:179], s[14:15], v[24:25]
	v_fma_f64 v[16:17], v[14:15], s[26:27], -v[6:7]
	v_fma_f64 v[6:7], v[14:15], s[26:27], v[6:7]
	v_fma_f64 v[18:19], v[14:15], s[12:13], -v[8:9]
	v_fma_f64 v[8:9], v[14:15], s[12:13], v[8:9]
	v_fma_f64 v[20:21], v[14:15], s[14:15], -v[10:11]
	v_fma_f64 v[10:11], v[14:15], s[14:15], v[10:11]
	v_fma_f64 v[22:23], v[14:15], s[10:11], -v[12:13]
	v_fma_f64 v[12:13], v[14:15], s[10:11], v[12:13]
	v_fma_f64 v[176:177], v[14:15], s[2:3], -v[4:5]
	v_fma_f64 v[4:5], v[14:15], s[2:3], v[4:5]
	v_add_f64_e64 v[14:15], v[0:1], -v[134:135]
	v_add_f64_e32 v[0:1], v[203:204], v[0:1]
	v_mul_f64_e32 v[251:252], s[36:37], v[247:248]
	v_fma_f64 v[98:99], v[178:179], s[26:27], v[96:97]
	v_mul_f64_e32 v[48:49], s[18:19], v[247:248]
	v_mul_f64_e32 v[56:57], s[34:35], v[247:248]
	v_add_f64_e32 v[8:9], v[203:204], v[8:9]
	v_add_f64_e32 v[20:21], v[203:204], v[20:21]
	;; [unrolled: 1-line block ×7, first 2 shown]
	v_mul_f64_e32 v[172:173], s[22:23], v[14:15]
	v_mul_f64_e32 v[168:169], s[28:29], v[14:15]
	;; [unrolled: 1-line block ×5, first 2 shown]
	scratch_store_b64 off, v[0:1], off offset:320 ; 8-byte Folded Spill
	v_mul_f64_e32 v[0:1], s[28:29], v[237:238]
	v_fma_f64 v[50:51], v[249:250], s[2:3], -v[48:49]
	v_fma_f64 v[58:59], v[249:250], s[12:13], -v[56:57]
	v_fma_f64 v[194:195], v[183:184], s[14:15], v[172:173]
	v_fma_f64 v[186:187], v[183:184], s[26:27], v[168:169]
	v_fma_f64 v[188:189], v[183:184], s[26:27], -v[168:169]
	v_fma_f64 v[190:191], v[183:184], s[12:13], v[170:171]
	v_fma_f64 v[192:193], v[183:184], s[12:13], -v[170:171]
	v_fma_f64 v[196:197], v[183:184], s[14:15], -v[172:173]
	v_fma_f64 v[198:199], v[183:184], s[10:11], v[174:175]
	v_fma_f64 v[200:201], v[183:184], s[10:11], -v[174:175]
	v_fma_f64 v[207:208], v[183:184], s[2:3], v[14:15]
	v_fma_f64 v[14:15], v[183:184], s[2:3], -v[14:15]
	v_add_f64_e32 v[170:171], v[205:206], v[2:3]
	v_add_f64_e32 v[2:3], v[203:204], v[16:17]
	;; [unrolled: 1-line block ×5, first 2 shown]
	v_add_f64_e64 v[194:195], v[142:143], -v[136:137]
	v_add_f64_e32 v[168:169], v[205:206], v[186:187]
	v_add_f64_e32 v[174:175], v[205:206], v[188:189]
	;; [unrolled: 1-line block ×10, first 2 shown]
	v_mul_f64_e32 v[198:199], s[20:21], v[194:195]
	s_delay_alu instid0(VALU_DEP_1) | instskip(NEXT) | instid1(VALU_DEP_1)
	v_fma_f64 v[200:201], v[196:197], s[10:11], -v[198:199]
	v_add_f64_e32 v[6:7], v[200:201], v[6:7]
	v_add_f64_e64 v[200:201], v[140:141], -v[138:139]
	s_delay_alu instid0(VALU_DEP_1) | instskip(SKIP_2) | instid1(VALU_DEP_3)
	v_mul_f64_e32 v[231:232], s[20:21], v[200:201]
	v_mul_f64_e32 v[227:228], s[38:39], v[200:201]
	;; [unrolled: 1-line block ×3, first 2 shown]
	v_fma_f64 v[203:204], v[239:240], s[10:11], v[231:232]
	s_delay_alu instid0(VALU_DEP_1) | instskip(SKIP_1) | instid1(VALU_DEP_1)
	v_add_f64_e32 v[16:17], v[203:204], v[16:17]
	v_fma_f64 v[203:204], v[241:242], s[2:3], -v[233:234]
	v_add_f64_e32 v[6:7], v[203:204], v[6:7]
	v_fma_f64 v[203:204], v[243:244], s[2:3], v[245:246]
	s_delay_alu instid0(VALU_DEP_1) | instskip(SKIP_1) | instid1(VALU_DEP_2)
	v_add_f64_e32 v[16:17], v[203:204], v[16:17]
	v_fma_f64 v[203:204], v[249:250], s[14:15], -v[251:252]
	v_add_f64_e32 v[16:17], v[26:27], v[16:17]
	v_add_f64_e64 v[26:27], v[158:159], -v[162:163]
	s_delay_alu instid0(VALU_DEP_3) | instskip(NEXT) | instid1(VALU_DEP_2)
	v_add_f64_e32 v[6:7], v[203:204], v[6:7]
	v_mul_f64_e32 v[30:31], s[30:31], v[26:27]
	v_mul_f64_e32 v[52:53], s[34:35], v[26:27]
	;; [unrolled: 1-line block ×3, first 2 shown]
	s_delay_alu instid0(VALU_DEP_3) | instskip(NEXT) | instid1(VALU_DEP_3)
	v_fma_f64 v[203:204], v[28:29], s[26:27], -v[30:31]
	v_fma_f64 v[54:55], v[28:29], s[12:13], -v[52:53]
	s_delay_alu instid0(VALU_DEP_3) | instskip(NEXT) | instid1(VALU_DEP_3)
	v_fma_f64 v[62:63], v[28:29], s[14:15], -v[60:61]
	v_add_f64_e32 v[203:204], v[203:204], v[6:7]
	v_add_f64_e64 v[6:7], v[156:157], -v[160:161]
	s_delay_alu instid0(VALU_DEP_1) | instskip(NEXT) | instid1(VALU_DEP_1)
	v_mul_f64_e32 v[34:35], s[30:31], v[6:7]
	v_fma_f64 v[205:206], v[32:33], s[26:27], v[34:35]
	s_delay_alu instid0(VALU_DEP_1) | instskip(SKIP_1) | instid1(VALU_DEP_1)
	v_add_f64_e32 v[205:206], v[205:206], v[16:17]
	v_mul_f64_e32 v[16:17], s[38:39], v[194:195]
	v_fma_f64 v[207:208], v[196:197], s[2:3], -v[16:17]
	s_delay_alu instid0(VALU_DEP_1) | instskip(SKIP_1) | instid1(VALU_DEP_1)
	v_add_f64_e32 v[20:21], v[207:208], v[20:21]
	v_fma_f64 v[207:208], v[239:240], s[2:3], v[227:228]
	v_add_f64_e32 v[183:184], v[207:208], v[183:184]
	v_fma_f64 v[207:208], v[241:242], s[12:13], -v[229:230]
	s_delay_alu instid0(VALU_DEP_2) | instskip(SKIP_1) | instid1(VALU_DEP_3)
	v_add_f64_e32 v[38:39], v[38:39], v[183:184]
	v_mul_f64_e32 v[183:184], s[28:29], v[247:248]
	v_add_f64_e32 v[20:21], v[207:208], v[20:21]
	s_delay_alu instid0(VALU_DEP_3) | instskip(NEXT) | instid1(VALU_DEP_3)
	v_add_f64_e32 v[38:39], v[98:99], v[38:39]
	v_fma_f64 v[207:208], v[249:250], s[26:27], -v[183:184]
	v_mul_f64_e32 v[98:99], s[20:21], v[26:27]
	s_delay_alu instid0(VALU_DEP_2) | instskip(NEXT) | instid1(VALU_DEP_2)
	v_add_f64_e32 v[20:21], v[207:208], v[20:21]
	v_fma_f64 v[207:208], v[28:29], s[10:11], -v[98:99]
	s_delay_alu instid0(VALU_DEP_1) | instskip(SKIP_1) | instid1(VALU_DEP_1)
	v_add_f64_e32 v[207:208], v[207:208], v[20:21]
	v_mul_f64_e32 v[20:21], s[20:21], v[6:7]
	v_fma_f64 v[209:210], v[32:33], s[10:11], v[20:21]
	s_delay_alu instid0(VALU_DEP_1) | instskip(SKIP_1) | instid1(VALU_DEP_1)
	v_add_f64_e32 v[209:210], v[209:210], v[38:39]
	v_mul_f64_e32 v[38:39], s[36:37], v[194:195]
	v_fma_f64 v[211:212], v[196:197], s[14:15], -v[38:39]
	s_delay_alu instid0(VALU_DEP_1) | instskip(SKIP_1) | instid1(VALU_DEP_1)
	v_add_f64_e32 v[22:23], v[211:212], v[22:23]
	v_fma_f64 v[211:212], v[239:240], s[14:15], v[223:224]
	v_add_f64_e32 v[188:189], v[211:212], v[188:189]
	v_fma_f64 v[211:212], v[241:242], s[26:27], -v[225:226]
	s_delay_alu instid0(VALU_DEP_1) | instskip(SKIP_2) | instid1(VALU_DEP_3)
	v_add_f64_e32 v[22:23], v[211:212], v[22:23]
	v_fma_f64 v[211:212], v[243:244], s[26:27], v[0:1]
	v_fma_f64 v[0:1], v[243:244], s[26:27], -v[0:1]
	v_add_f64_e32 v[22:23], v[50:51], v[22:23]
	v_mul_f64_e32 v[50:51], s[18:19], v[253:254]
	s_delay_alu instid0(VALU_DEP_4) | instskip(NEXT) | instid1(VALU_DEP_2)
	v_add_f64_e32 v[188:189], v[211:212], v[188:189]
	v_fma_f64 v[211:212], v[178:179], s[2:3], v[50:51]
	s_delay_alu instid0(VALU_DEP_1) | instskip(SKIP_2) | instid1(VALU_DEP_1)
	v_add_f64_e32 v[188:189], v[211:212], v[188:189]
	v_add_f64_e32 v[211:212], v[54:55], v[22:23]
	v_mul_f64_e32 v[22:23], s[34:35], v[6:7]
	v_fma_f64 v[54:55], v[32:33], s[12:13], v[22:23]
	s_delay_alu instid0(VALU_DEP_1) | instskip(SKIP_1) | instid1(VALU_DEP_1)
	v_add_f64_e32 v[213:214], v[54:55], v[188:189]
	v_mul_f64_e32 v[54:55], s[30:31], v[194:195]
	v_fma_f64 v[188:189], v[196:197], s[26:27], -v[54:55]
	v_fma_f64 v[54:55], v[196:197], s[26:27], v[54:55]
	s_delay_alu instid0(VALU_DEP_2) | instskip(SKIP_1) | instid1(VALU_DEP_3)
	v_add_f64_e32 v[176:177], v[188:189], v[176:177]
	v_mul_f64_e32 v[188:189], s[30:31], v[200:201]
	v_add_f64_e32 v[4:5], v[54:55], v[4:5]
	s_delay_alu instid0(VALU_DEP_2) | instskip(SKIP_1) | instid1(VALU_DEP_2)
	v_fma_f64 v[215:216], v[239:240], s[26:27], v[188:189]
	v_fma_f64 v[54:55], v[239:240], s[26:27], -v[188:189]
	v_add_f64_e32 v[192:193], v[215:216], v[192:193]
	v_fma_f64 v[215:216], v[241:242], s[10:11], -v[219:220]
	s_delay_alu instid0(VALU_DEP_3) | instskip(SKIP_1) | instid1(VALU_DEP_3)
	v_add_f64_e32 v[14:15], v[54:55], v[14:15]
	v_fma_f64 v[54:55], v[241:242], s[10:11], v[219:220]
	v_add_f64_e32 v[176:177], v[215:216], v[176:177]
	v_fma_f64 v[215:216], v[243:244], s[10:11], v[221:222]
	s_delay_alu instid0(VALU_DEP_3) | instskip(SKIP_1) | instid1(VALU_DEP_4)
	v_add_f64_e32 v[4:5], v[54:55], v[4:5]
	v_fma_f64 v[54:55], v[243:244], s[10:11], -v[221:222]
	v_add_f64_e32 v[58:59], v[58:59], v[176:177]
	v_mul_f64_e32 v[176:177], s[34:35], v[253:254]
	v_add_f64_e32 v[192:193], v[215:216], v[192:193]
	s_delay_alu instid0(VALU_DEP_4) | instskip(SKIP_1) | instid1(VALU_DEP_4)
	v_add_f64_e32 v[14:15], v[54:55], v[14:15]
	v_fma_f64 v[54:55], v[249:250], s[12:13], v[56:57]
	v_fma_f64 v[215:216], v[178:179], s[12:13], v[176:177]
	s_delay_alu instid0(VALU_DEP_2) | instskip(SKIP_1) | instid1(VALU_DEP_3)
	v_add_f64_e32 v[4:5], v[54:55], v[4:5]
	v_fma_f64 v[54:55], v[178:179], s[12:13], -v[176:177]
	v_add_f64_e32 v[192:193], v[215:216], v[192:193]
	v_add_f64_e32 v[215:216], v[62:63], v[58:59]
	v_mul_f64_e32 v[58:59], s[22:23], v[6:7]
	v_mul_f64_e32 v[6:7], s[18:19], v[6:7]
	v_add_f64_e32 v[14:15], v[54:55], v[14:15]
	v_fma_f64 v[54:55], v[28:29], s[14:15], v[60:61]
	s_delay_alu instid0(VALU_DEP_4) | instskip(SKIP_1) | instid1(VALU_DEP_3)
	v_fma_f64 v[56:57], v[32:33], s[14:15], -v[58:59]
	v_fma_f64 v[62:63], v[32:33], s[14:15], v[58:59]
	v_add_f64_e32 v[219:220], v[54:55], v[4:5]
	v_fma_f64 v[4:5], v[196:197], s[14:15], v[38:39]
	s_delay_alu instid0(VALU_DEP_4) | instskip(SKIP_2) | instid1(VALU_DEP_4)
	v_add_f64_e32 v[221:222], v[56:57], v[14:15]
	v_fma_f64 v[14:15], v[241:242], s[26:27], v[225:226]
	v_add_f64_e32 v[217:218], v[62:63], v[192:193]
	v_add_f64_e32 v[4:5], v[4:5], v[12:13]
	v_fma_f64 v[12:13], v[239:240], s[14:15], -v[223:224]
	s_delay_alu instid0(VALU_DEP_2) | instskip(NEXT) | instid1(VALU_DEP_2)
	v_add_f64_e32 v[4:5], v[14:15], v[4:5]
	v_add_f64_e32 v[12:13], v[12:13], v[190:191]
	v_fma_f64 v[14:15], v[32:33], s[12:13], -v[22:23]
	s_delay_alu instid0(VALU_DEP_2) | instskip(SKIP_1) | instid1(VALU_DEP_1)
	v_add_f64_e32 v[0:1], v[0:1], v[12:13]
	v_fma_f64 v[12:13], v[249:250], s[2:3], v[48:49]
	v_add_f64_e32 v[4:5], v[12:13], v[4:5]
	v_fma_f64 v[12:13], v[178:179], s[2:3], -v[50:51]
	s_delay_alu instid0(VALU_DEP_1) | instskip(SKIP_1) | instid1(VALU_DEP_2)
	v_add_f64_e32 v[0:1], v[12:13], v[0:1]
	v_fma_f64 v[12:13], v[28:29], s[12:13], v[52:53]
	v_add_f64_e32 v[225:226], v[14:15], v[0:1]
	v_fma_f64 v[0:1], v[196:197], s[2:3], v[16:17]
	s_delay_alu instid0(VALU_DEP_3) | instskip(SKIP_2) | instid1(VALU_DEP_4)
	v_add_f64_e32 v[223:224], v[12:13], v[4:5]
	v_fma_f64 v[4:5], v[239:240], s[2:3], -v[227:228]
	v_fma_f64 v[12:13], v[32:33], s[10:11], -v[20:21]
	v_add_f64_e32 v[0:1], v[0:1], v[10:11]
	v_fma_f64 v[10:11], v[241:242], s[12:13], v[229:230]
	s_delay_alu instid0(VALU_DEP_4) | instskip(NEXT) | instid1(VALU_DEP_2)
	v_add_f64_e32 v[4:5], v[4:5], v[186:187]
	v_add_f64_e32 v[0:1], v[10:11], v[0:1]
	v_fma_f64 v[10:11], v[243:244], s[12:13], -v[36:37]
	s_delay_alu instid0(VALU_DEP_1) | instskip(SKIP_1) | instid1(VALU_DEP_1)
	v_add_f64_e32 v[4:5], v[10:11], v[4:5]
	v_fma_f64 v[10:11], v[249:250], s[26:27], v[183:184]
	v_add_f64_e32 v[0:1], v[10:11], v[0:1]
	v_fma_f64 v[10:11], v[178:179], s[26:27], -v[96:97]
	s_delay_alu instid0(VALU_DEP_1) | instskip(SKIP_1) | instid1(VALU_DEP_2)
	v_add_f64_e32 v[4:5], v[10:11], v[4:5]
	v_fma_f64 v[10:11], v[28:29], s[10:11], v[98:99]
	v_add_f64_e32 v[229:230], v[12:13], v[4:5]
	s_delay_alu instid0(VALU_DEP_2) | instskip(SKIP_3) | instid1(VALU_DEP_3)
	v_add_f64_e32 v[227:228], v[10:11], v[0:1]
	v_fma_f64 v[0:1], v[196:197], s[10:11], v[198:199]
	v_fma_f64 v[4:5], v[239:240], s[10:11], -v[231:232]
	v_fma_f64 v[10:11], v[32:33], s[26:27], -v[34:35]
	v_add_f64_e32 v[0:1], v[0:1], v[8:9]
	v_fma_f64 v[8:9], v[241:242], s[2:3], v[233:234]
	s_delay_alu instid0(VALU_DEP_4) | instskip(NEXT) | instid1(VALU_DEP_2)
	v_add_f64_e32 v[4:5], v[4:5], v[18:19]
	v_add_f64_e32 v[0:1], v[8:9], v[0:1]
	v_fma_f64 v[8:9], v[243:244], s[2:3], -v[245:246]
	s_delay_alu instid0(VALU_DEP_1) | instskip(SKIP_1) | instid1(VALU_DEP_1)
	v_add_f64_e32 v[4:5], v[8:9], v[4:5]
	v_fma_f64 v[8:9], v[249:250], s[14:15], v[251:252]
	v_add_f64_e32 v[0:1], v[8:9], v[0:1]
	v_fma_f64 v[8:9], v[178:179], s[14:15], -v[24:25]
	s_delay_alu instid0(VALU_DEP_1) | instskip(SKIP_1) | instid1(VALU_DEP_2)
	v_add_f64_e32 v[4:5], v[8:9], v[4:5]
	v_fma_f64 v[8:9], v[28:29], s[26:27], v[30:31]
	v_add_f64_e32 v[233:234], v[10:11], v[4:5]
	s_delay_alu instid0(VALU_DEP_2) | instskip(SKIP_2) | instid1(VALU_DEP_2)
	v_add_f64_e32 v[231:232], v[8:9], v[0:1]
	v_mul_f64_e32 v[0:1], s[24:25], v[194:195]
	v_mul_f64_e32 v[10:11], s[22:23], v[235:236]
	v_fma_f64 v[4:5], v[196:197], s[12:13], -v[0:1]
	s_delay_alu instid0(VALU_DEP_2) | instskip(SKIP_1) | instid1(VALU_DEP_3)
	v_fma_f64 v[12:13], v[241:242], s[14:15], -v[10:11]
	v_fma_f64 v[0:1], v[196:197], s[12:13], v[0:1]
	v_add_f64_e32 v[2:3], v[4:5], v[2:3]
	v_mul_f64_e32 v[4:5], s[24:25], v[200:201]
	s_delay_alu instid0(VALU_DEP_3) | instskip(NEXT) | instid1(VALU_DEP_3)
	v_add_f64_e32 v[0:1], v[0:1], v[172:173]
	v_add_f64_e32 v[2:3], v[12:13], v[2:3]
	s_delay_alu instid0(VALU_DEP_3) | instskip(SKIP_1) | instid1(VALU_DEP_2)
	v_fma_f64 v[8:9], v[239:240], s[12:13], v[4:5]
	v_mul_f64_e32 v[12:13], s[22:23], v[237:238]
	v_add_f64_e32 v[8:9], v[8:9], v[168:169]
	s_delay_alu instid0(VALU_DEP_2) | instskip(NEXT) | instid1(VALU_DEP_1)
	v_fma_f64 v[14:15], v[243:244], s[14:15], v[12:13]
	v_add_f64_e32 v[8:9], v[14:15], v[8:9]
	v_mul_f64_e32 v[14:15], s[20:21], v[247:248]
	s_delay_alu instid0(VALU_DEP_1) | instskip(NEXT) | instid1(VALU_DEP_1)
	v_fma_f64 v[16:17], v[249:250], s[10:11], -v[14:15]
	v_add_f64_e32 v[2:3], v[16:17], v[2:3]
	v_mul_f64_e32 v[16:17], s[20:21], v[253:254]
	s_delay_alu instid0(VALU_DEP_1) | instskip(NEXT) | instid1(VALU_DEP_1)
	v_fma_f64 v[18:19], v[178:179], s[10:11], v[16:17]
	v_add_f64_e32 v[8:9], v[18:19], v[8:9]
	v_mul_f64_e32 v[18:19], s[18:19], v[26:27]
	s_delay_alu instid0(VALU_DEP_1) | instskip(NEXT) | instid1(VALU_DEP_1)
	v_fma_f64 v[20:21], v[28:29], s[2:3], -v[18:19]
	v_add_f64_e32 v[235:236], v[20:21], v[2:3]
	v_fma_f64 v[2:3], v[32:33], s[2:3], v[6:7]
	v_fma_f64 v[6:7], v[32:33], s[2:3], -v[6:7]
	s_delay_alu instid0(VALU_DEP_2) | instskip(SKIP_2) | instid1(VALU_DEP_1)
	v_add_f64_e32 v[237:238], v[2:3], v[8:9]
	scratch_load_b64 v[2:3], off, off offset:320 th:TH_LOAD_LU ; 8-byte Folded Reload
	v_add_f64_e32 v[8:9], v[170:171], v[142:143]
	v_add_f64_e32 v[8:9], v[8:9], v[150:151]
	s_delay_alu instid0(VALU_DEP_1) | instskip(NEXT) | instid1(VALU_DEP_1)
	v_add_f64_e32 v[8:9], v[8:9], v[154:155]
	v_add_f64_e32 v[8:9], v[8:9], v[158:159]
	s_delay_alu instid0(VALU_DEP_1) | instskip(NEXT) | instid1(VALU_DEP_1)
	;; [unrolled: 3-line block ×3, first 2 shown]
	v_add_f64_e32 v[8:9], v[8:9], v[144:145]
	v_add_f64_e32 v[8:9], v[8:9], v[136:137]
	s_wait_loadcnt 0x0
	v_add_f64_e32 v[2:3], v[2:3], v[140:141]
	s_delay_alu instid0(VALU_DEP_1) | instskip(NEXT) | instid1(VALU_DEP_1)
	v_add_f64_e32 v[2:3], v[2:3], v[148:149]
	v_add_f64_e32 v[2:3], v[2:3], v[152:153]
	s_delay_alu instid0(VALU_DEP_1) | instskip(NEXT) | instid1(VALU_DEP_1)
	v_add_f64_e32 v[2:3], v[2:3], v[156:157]
	;; [unrolled: 3-line block ×3, first 2 shown]
	v_add_f64_e32 v[2:3], v[2:3], v[146:147]
	s_delay_alu instid0(VALU_DEP_1) | instskip(SKIP_3) | instid1(VALU_DEP_4)
	v_add_f64_e32 v[2:3], v[2:3], v[138:139]
	v_add_f64_e32 v[138:139], v[8:9], v[132:133]
	v_fma_f64 v[8:9], v[243:244], s[14:15], -v[12:13]
	v_fma_f64 v[12:13], v[178:179], s[10:11], -v[16:17]
	v_add_f64_e32 v[136:137], v[2:3], v[134:135]
	v_fma_f64 v[2:3], v[239:240], s[12:13], -v[4:5]
	v_fma_f64 v[4:5], v[241:242], s[14:15], v[10:11]
	v_fma_f64 v[10:11], v[249:250], s[10:11], v[14:15]
	s_delay_alu instid0(VALU_DEP_3) | instskip(NEXT) | instid1(VALU_DEP_3)
	v_add_f64_e32 v[2:3], v[2:3], v[174:175]
	v_add_f64_e32 v[0:1], v[4:5], v[0:1]
	v_fma_f64 v[4:5], v[28:29], s[2:3], v[18:19]
	s_delay_alu instid0(VALU_DEP_3) | instskip(NEXT) | instid1(VALU_DEP_3)
	v_add_f64_e32 v[2:3], v[8:9], v[2:3]
	v_add_f64_e32 v[0:1], v[10:11], v[0:1]
	s_delay_alu instid0(VALU_DEP_2) | instskip(NEXT) | instid1(VALU_DEP_2)
	v_add_f64_e32 v[2:3], v[12:13], v[2:3]
	v_add_f64_e32 v[132:133], v[4:5], v[0:1]
	s_delay_alu instid0(VALU_DEP_2)
	v_add_f64_e32 v[134:135], v[6:7], v[2:3]
	ds_store_b128 v180, v[203:206] offset:2816
	ds_store_b128 v180, v[207:210] offset:4224
	;; [unrolled: 1-line block ×9, first 2 shown]
	ds_store_b128 v180, v[136:139]
	ds_store_b128 v180, v[132:135] offset:14080
	global_wb scope:SCOPE_SE
	s_wait_storecnt_dscnt 0x0
	s_barrier_signal -1
	s_barrier_wait -1
	global_inv scope:SCOPE_SE
	scratch_load_b64 v[219:220], off, off offset:156 ; 8-byte Folded Reload
	s_wait_loadcnt 0x0
	global_load_b128 v[136:139], v[219:220], off offset:15488
	ds_load_b128 v[140:143], v180
	ds_load_b128 v[144:147], v180 offset:1408
	s_clause 0x1
	global_load_b128 v[148:151], v182, s[0:1] offset:7744
	global_load_b128 v[156:159], v182, s[0:1] offset:9152
	ds_load_b128 v[152:155], v180 offset:7744
	ds_load_b128 v[160:163], v180 offset:5632
	s_clause 0x1
	global_load_b128 v[164:167], v182, s[0:1] offset:1408
	global_load_b128 v[168:171], v182, s[0:1] offset:2816
	s_wait_loadcnt_dscnt 0x403
	v_mul_f64_e32 v[0:1], v[142:143], v[138:139]
	v_mul_f64_e32 v[2:3], v[140:141], v[138:139]
	s_delay_alu instid0(VALU_DEP_2) | instskip(NEXT) | instid1(VALU_DEP_2)
	v_fma_f64 v[138:139], v[140:141], v[136:137], -v[0:1]
	v_fma_f64 v[140:141], v[142:143], v[136:137], v[2:3]
	s_wait_loadcnt_dscnt 0x301
	v_mul_f64_e32 v[0:1], v[154:155], v[150:151]
	v_mul_f64_e32 v[2:3], v[152:153], v[150:151]
	s_delay_alu instid0(VALU_DEP_2) | instskip(NEXT) | instid1(VALU_DEP_2)
	v_fma_f64 v[150:151], v[152:153], v[148:149], -v[0:1]
	v_fma_f64 v[152:153], v[154:155], v[148:149], v[2:3]
	s_wait_loadcnt 0x1
	v_mul_f64_e32 v[0:1], v[146:147], v[166:167]
	v_mul_f64_e32 v[2:3], v[144:145], v[166:167]
	s_delay_alu instid0(VALU_DEP_2) | instskip(NEXT) | instid1(VALU_DEP_2)
	v_fma_f64 v[142:143], v[144:145], v[164:165], -v[0:1]
	v_fma_f64 v[144:145], v[146:147], v[164:165], v[2:3]
	ds_load_b128 v[146:149], v180 offset:9152
	ds_load_b128 v[164:167], v180 offset:10560
	s_wait_dscnt 0x1
	v_mul_f64_e32 v[0:1], v[148:149], v[158:159]
	v_mul_f64_e32 v[2:3], v[146:147], v[158:159]
	s_delay_alu instid0(VALU_DEP_2) | instskip(NEXT) | instid1(VALU_DEP_2)
	v_fma_f64 v[146:147], v[146:147], v[156:157], -v[0:1]
	v_fma_f64 v[148:149], v[148:149], v[156:157], v[2:3]
	ds_load_b128 v[154:157], v180 offset:2816
	ds_load_b128 v[172:175], v180 offset:4224
	s_wait_loadcnt_dscnt 0x1
	v_mul_f64_e32 v[0:1], v[156:157], v[170:171]
	v_mul_f64_e32 v[2:3], v[154:155], v[170:171]
	s_delay_alu instid0(VALU_DEP_2) | instskip(NEXT) | instid1(VALU_DEP_2)
	v_fma_f64 v[154:155], v[154:155], v[168:169], -v[0:1]
	v_fma_f64 v[156:157], v[156:157], v[168:169], v[2:3]
	s_clause 0x1
	global_load_b128 v[168:171], v182, s[0:1] offset:10560
	global_load_b128 v[203:206], v182, s[0:1] offset:11968
	s_wait_loadcnt 0x1
	v_mul_f64_e32 v[0:1], v[166:167], v[170:171]
	v_mul_f64_e32 v[2:3], v[164:165], v[170:171]
	s_delay_alu instid0(VALU_DEP_2) | instskip(NEXT) | instid1(VALU_DEP_2)
	v_fma_f64 v[164:165], v[164:165], v[168:169], -v[0:1]
	v_fma_f64 v[166:167], v[166:167], v[168:169], v[2:3]
	s_clause 0x1
	global_load_b128 v[168:171], v182, s[0:1] offset:4224
	global_load_b128 v[207:210], v182, s[0:1] offset:5632
	ds_load_b128 v[211:214], v180 offset:11968
	ds_load_b128 v[215:218], v180 offset:13376
	s_wait_loadcnt_dscnt 0x102
	v_mul_f64_e32 v[0:1], v[174:175], v[170:171]
	v_mul_f64_e32 v[2:3], v[172:173], v[170:171]
	s_delay_alu instid0(VALU_DEP_2) | instskip(NEXT) | instid1(VALU_DEP_2)
	v_fma_f64 v[170:171], v[172:173], v[168:169], -v[0:1]
	v_fma_f64 v[172:173], v[174:175], v[168:169], v[2:3]
	s_wait_dscnt 0x1
	v_mul_f64_e32 v[0:1], v[213:214], v[205:206]
	v_mul_f64_e32 v[2:3], v[211:212], v[205:206]
	s_delay_alu instid0(VALU_DEP_2) | instskip(NEXT) | instid1(VALU_DEP_2)
	v_fma_f64 v[211:212], v[211:212], v[203:204], -v[0:1]
	v_fma_f64 v[213:214], v[213:214], v[203:204], v[2:3]
	global_load_b128 v[203:206], v182, s[0:1] offset:13376
	s_wait_loadcnt 0x1
	v_mul_f64_e32 v[0:1], v[162:163], v[209:210]
	v_mul_f64_e32 v[2:3], v[160:161], v[209:210]
	s_delay_alu instid0(VALU_DEP_2) | instskip(NEXT) | instid1(VALU_DEP_2)
	v_fma_f64 v[158:159], v[160:161], v[207:208], -v[0:1]
	v_fma_f64 v[160:161], v[162:163], v[207:208], v[2:3]
	s_wait_loadcnt_dscnt 0x0
	v_mul_f64_e32 v[0:1], v[217:218], v[205:206]
	v_mul_f64_e32 v[2:3], v[215:216], v[205:206]
	s_delay_alu instid0(VALU_DEP_2) | instskip(NEXT) | instid1(VALU_DEP_2)
	v_fma_f64 v[205:206], v[215:216], v[203:204], -v[0:1]
	v_fma_f64 v[207:208], v[217:218], v[203:204], v[2:3]
	ds_store_b128 v180, v[138:141]
	ds_store_b128 v180, v[142:145] offset:1408
	ds_store_b128 v180, v[146:149] offset:9152
	;; [unrolled: 1-line block ×9, first 2 shown]
	s_and_saveexec_b32 s2, vcc_lo
	s_cbranch_execz .LBB0_17
; %bb.16:
	s_wait_alu 0xfffe
	v_add_co_u32 v0, s0, s0, v182
	s_wait_alu 0xf1ff
	v_add_co_ci_u32_e64 v1, null, s1, 0, s0
	s_clause 0x1
	global_load_b128 v[136:139], v[0:1], off offset:7040
	global_load_b128 v[140:143], v[0:1], off offset:14784
	ds_load_b128 v[144:147], v180 offset:7040
	ds_load_b128 v[148:151], v180 offset:14784
	s_wait_loadcnt_dscnt 0x101
	v_mul_f64_e32 v[0:1], v[146:147], v[138:139]
	v_mul_f64_e32 v[2:3], v[144:145], v[138:139]
	s_wait_loadcnt_dscnt 0x0
	v_mul_f64_e32 v[4:5], v[150:151], v[142:143]
	v_mul_f64_e32 v[6:7], v[148:149], v[142:143]
	s_delay_alu instid0(VALU_DEP_4) | instskip(NEXT) | instid1(VALU_DEP_4)
	v_fma_f64 v[142:143], v[144:145], v[136:137], -v[0:1]
	v_fma_f64 v[144:145], v[146:147], v[136:137], v[2:3]
	s_delay_alu instid0(VALU_DEP_4) | instskip(NEXT) | instid1(VALU_DEP_4)
	v_fma_f64 v[136:137], v[148:149], v[140:141], -v[4:5]
	v_fma_f64 v[138:139], v[150:151], v[140:141], v[6:7]
	ds_store_b128 v180, v[142:145] offset:7040
	ds_store_b128 v180, v[136:139] offset:14784
.LBB0_17:
	s_wait_alu 0xfffe
	s_or_b32 exec_lo, exec_lo, s2
	global_wb scope:SCOPE_SE
	s_wait_dscnt 0x0
	s_barrier_signal -1
	s_barrier_wait -1
	global_inv scope:SCOPE_SE
	ds_load_b128 v[136:139], v180
	ds_load_b128 v[140:143], v180 offset:1408
	ds_load_b128 v[168:171], v180 offset:9152
	;; [unrolled: 1-line block ×9, first 2 shown]
	s_and_saveexec_b32 s0, vcc_lo
	s_cbranch_execz .LBB0_19
; %bb.18:
	ds_load_b128 v[132:135], v180 offset:7040
	ds_load_b128 v[0:3], v180 offset:14784
	s_wait_dscnt 0x0
	scratch_store_b128 off, v[0:3], off offset:4 ; 16-byte Folded Spill
.LBB0_19:
	s_wait_alu 0xfffe
	s_or_b32 exec_lo, exec_lo, s0
	scratch_load_b128 v[0:3], off, off offset:4 th:TH_LOAD_LU ; 16-byte Folded Reload
	global_wb scope:SCOPE_SE
	s_wait_storecnt 0x0
	s_wait_loadcnt_dscnt 0x0
	s_barrier_signal -1
	s_barrier_wait -1
	global_inv scope:SCOPE_SE
	v_add_f64_e64 v[172:173], v[136:137], -v[172:173]
	v_add_f64_e64 v[174:175], v[138:139], -v[174:175]
	;; [unrolled: 1-line block ×10, first 2 shown]
	v_fma_f64 v[136:137], v[136:137], 2.0, -v[172:173]
	v_fma_f64 v[138:139], v[138:139], 2.0, -v[174:175]
	;; [unrolled: 1-line block ×10, first 2 shown]
	v_add_f64_e64 v[96:97], v[132:133], -v[0:1]
	scratch_load_b32 v0, off, off offset:196 th:TH_LOAD_LU ; 4-byte Folded Reload
	v_add_f64_e64 v[98:99], v[134:135], -v[2:3]
	s_wait_loadcnt 0x0
	ds_store_b128 v0, v[136:139]
	ds_store_b128 v0, v[172:175] offset:16
	scratch_load_b32 v0, off, off offset:228 th:TH_LOAD_LU ; 4-byte Folded Reload
	v_fma_f64 v[132:133], v[132:133], 2.0, -v[96:97]
	v_fma_f64 v[134:135], v[134:135], 2.0, -v[98:99]
	s_wait_loadcnt 0x0
	ds_store_b128 v0, v[140:143]
	ds_store_b128 v0, v[168:171] offset:16
	scratch_load_b32 v0, off, off offset:208 th:TH_LOAD_LU ; 4-byte Folded Reload
	s_wait_loadcnt 0x0
	ds_store_b128 v0, v[148:151]
	ds_store_b128 v0, v[164:167] offset:16
	scratch_load_b32 v0, off, off offset:204 th:TH_LOAD_LU ; 4-byte Folded Reload
	;; [unrolled: 4-line block ×3, first 2 shown]
	s_wait_loadcnt 0x0
	ds_store_b128 v0, v[152:155]
	ds_store_b128 v0, v[156:159] offset:16
	s_and_saveexec_b32 s0, vcc_lo
	s_cbranch_execz .LBB0_21
; %bb.20:
	scratch_load_b32 v0, off, off offset:332 th:TH_LOAD_LU ; 4-byte Folded Reload
	s_wait_loadcnt 0x0
	ds_store_b128 v0, v[132:135]
	ds_store_b128 v0, v[96:99] offset:16
.LBB0_21:
	s_wait_alu 0xfffe
	s_or_b32 exec_lo, exec_lo, s0
	global_wb scope:SCOPE_SE
	s_wait_dscnt 0x0
	s_barrier_signal -1
	s_barrier_wait -1
	global_inv scope:SCOPE_SE
	ds_load_b128 v[136:139], v180
	ds_load_b128 v[140:143], v180 offset:1408
	ds_load_b128 v[156:159], v180 offset:9152
	;; [unrolled: 1-line block ×9, first 2 shown]
	s_and_saveexec_b32 s0, vcc_lo
	s_cbranch_execz .LBB0_23
; %bb.22:
	ds_load_b128 v[132:135], v180 offset:7040
	ds_load_b128 v[96:99], v180 offset:14784
.LBB0_23:
	s_wait_alu 0xfffe
	s_or_b32 exec_lo, exec_lo, s0
	s_wait_dscnt 0x3
	v_mul_f64_e32 v[0:1], v[46:47], v[174:175]
	v_mul_f64_e32 v[4:5], v[46:47], v[158:159]
	;; [unrolled: 1-line block ×3, first 2 shown]
	global_wb scope:SCOPE_SE
	s_wait_dscnt 0x0
	s_barrier_signal -1
	s_barrier_wait -1
	global_inv scope:SCOPE_SE
	v_mul_f64_e32 v[2:3], v[46:47], v[172:173]
	v_mul_f64_e32 v[8:9], v[46:47], v[162:163]
	v_mul_f64_e32 v[10:11], v[46:47], v[160:161]
	v_mul_f64_e32 v[16:17], v[46:47], v[166:167]
	v_mul_f64_e32 v[18:19], v[46:47], v[164:165]
	v_mul_f64_e32 v[12:13], v[46:47], v[170:171]
	v_mul_f64_e32 v[14:15], v[46:47], v[168:169]
	v_mul_f64_e32 v[20:21], v[46:47], v[98:99]
	v_mul_f64_e32 v[22:23], v[46:47], v[96:97]
	v_fma_f64 v[0:1], v[44:45], v[172:173], v[0:1]
	v_fma_f64 v[4:5], v[44:45], v[156:157], v[4:5]
	v_fma_f64 v[6:7], v[44:45], v[158:159], -v[6:7]
	v_fma_f64 v[2:3], v[44:45], v[174:175], -v[2:3]
	v_fma_f64 v[8:9], v[44:45], v[160:161], v[8:9]
	v_fma_f64 v[10:11], v[44:45], v[162:163], -v[10:11]
	v_fma_f64 v[16:17], v[44:45], v[164:165], v[16:17]
	;; [unrolled: 2-line block ×4, first 2 shown]
	v_fma_f64 v[22:23], v[44:45], v[98:99], -v[22:23]
	v_add_f64_e64 v[156:157], v[136:137], -v[0:1]
	scratch_load_b32 v0, off, off offset:280 th:TH_LOAD_LU ; 4-byte Folded Reload
	v_add_f64_e64 v[160:161], v[140:141], -v[4:5]
	v_add_f64_e64 v[162:163], v[142:143], -v[6:7]
	;; [unrolled: 1-line block ×11, first 2 shown]
	v_fma_f64 v[136:137], v[136:137], 2.0, -v[156:157]
	v_fma_f64 v[140:141], v[140:141], 2.0, -v[160:161]
	v_fma_f64 v[142:143], v[142:143], 2.0, -v[162:163]
	v_fma_f64 v[138:139], v[138:139], 2.0, -v[158:159]
	v_fma_f64 v[148:149], v[148:149], 2.0, -v[164:165]
	v_fma_f64 v[150:151], v[150:151], 2.0, -v[166:167]
	v_fma_f64 v[152:153], v[152:153], 2.0, -v[172:173]
	v_fma_f64 v[154:155], v[154:155], 2.0, -v[174:175]
	v_fma_f64 v[144:145], v[144:145], 2.0, -v[168:169]
	v_fma_f64 v[146:147], v[146:147], 2.0, -v[170:171]
	v_fma_f64 v[44:45], v[132:133], 2.0, -v[96:97]
	v_fma_f64 v[46:47], v[134:135], 2.0, -v[98:99]
	s_wait_loadcnt 0x0
	ds_store_b128 v0, v[136:139]
	ds_store_b128 v0, v[156:159] offset:32
	scratch_load_b32 v0, off, off offset:260 th:TH_LOAD_LU ; 4-byte Folded Reload
	s_wait_loadcnt 0x0
	ds_store_b128 v0, v[140:143]
	ds_store_b128 v0, v[160:163] offset:32
	scratch_load_b32 v0, off, off offset:256 th:TH_LOAD_LU ; 4-byte Folded Reload
	;; [unrolled: 4-line block ×4, first 2 shown]
	s_wait_loadcnt 0x0
	ds_store_b128 v0, v[152:155]
	ds_store_b128 v0, v[172:175] offset:32
	s_and_saveexec_b32 s0, vcc_lo
	s_cbranch_execz .LBB0_25
; %bb.24:
	s_clause 0x1
	scratch_load_b32 v0, off, off
	scratch_load_b32 v1, off, off offset:328 th:TH_LOAD_LU
	s_wait_loadcnt 0x0
	v_and_or_b32 v0, 0x3fc, v0, v1
	s_delay_alu instid0(VALU_DEP_1)
	v_lshl_add_u32 v0, v0, 4, v181
	ds_store_b128 v0, v[44:47]
	ds_store_b128 v0, v[96:99] offset:32
.LBB0_25:
	s_wait_alu 0xfffe
	s_or_b32 exec_lo, exec_lo, s0
	global_wb scope:SCOPE_SE
	s_wait_dscnt 0x0
	s_barrier_signal -1
	s_barrier_wait -1
	global_inv scope:SCOPE_SE
	ds_load_b128 v[136:139], v180
	ds_load_b128 v[140:143], v180 offset:1408
	ds_load_b128 v[152:155], v180 offset:9152
	;; [unrolled: 1-line block ×9, first 2 shown]
	s_and_saveexec_b32 s0, vcc_lo
	s_cbranch_execz .LBB0_27
; %bb.26:
	ds_load_b128 v[44:47], v180 offset:7040
	ds_load_b128 v[96:99], v180 offset:14784
.LBB0_27:
	s_wait_alu 0xfffe
	s_or_b32 exec_lo, exec_lo, s0
	s_wait_dscnt 0x3
	v_mul_f64_e32 v[0:1], v[42:43], v[170:171]
	v_mul_f64_e32 v[4:5], v[42:43], v[154:155]
	;; [unrolled: 1-line block ×3, first 2 shown]
	global_wb scope:SCOPE_SE
	s_wait_dscnt 0x0
	s_barrier_signal -1
	s_barrier_wait -1
	global_inv scope:SCOPE_SE
	v_mul_f64_e32 v[2:3], v[42:43], v[168:169]
	v_mul_f64_e32 v[8:9], v[42:43], v[158:159]
	;; [unrolled: 1-line block ×7, first 2 shown]
	v_fma_f64 v[0:1], v[40:41], v[168:169], v[0:1]
	v_fma_f64 v[4:5], v[40:41], v[152:153], v[4:5]
	v_fma_f64 v[6:7], v[40:41], v[154:155], -v[6:7]
	v_fma_f64 v[2:3], v[40:41], v[170:171], -v[2:3]
	v_fma_f64 v[8:9], v[40:41], v[156:157], v[8:9]
	v_fma_f64 v[10:11], v[40:41], v[158:159], -v[10:11]
	v_fma_f64 v[16:17], v[40:41], v[160:161], v[16:17]
	;; [unrolled: 2-line block ×3, first 2 shown]
	v_fma_f64 v[14:15], v[40:41], v[166:167], -v[14:15]
	v_add_f64_e64 v[152:153], v[136:137], -v[0:1]
	scratch_load_b32 v0, off, off offset:316 th:TH_LOAD_LU ; 4-byte Folded Reload
	v_add_f64_e64 v[156:157], v[140:141], -v[4:5]
	v_add_f64_e64 v[158:159], v[142:143], -v[6:7]
	;; [unrolled: 1-line block ×9, first 2 shown]
	v_fma_f64 v[136:137], v[136:137], 2.0, -v[152:153]
	v_fma_f64 v[140:141], v[140:141], 2.0, -v[156:157]
	;; [unrolled: 1-line block ×10, first 2 shown]
	s_wait_loadcnt 0x0
	ds_store_b128 v0, v[136:139]
	ds_store_b128 v0, v[152:155] offset:64
	scratch_load_b32 v0, off, off offset:312 th:TH_LOAD_LU ; 4-byte Folded Reload
	s_wait_loadcnt 0x0
	ds_store_b128 v0, v[140:143]
	ds_store_b128 v0, v[156:159] offset:64
	scratch_load_b32 v0, off, off offset:308 th:TH_LOAD_LU ; 4-byte Folded Reload
	;; [unrolled: 4-line block ×4, first 2 shown]
	s_wait_loadcnt 0x0
	ds_store_b128 v0, v[132:135]
	ds_store_b128 v0, v[168:171] offset:64
	s_and_saveexec_b32 s0, vcc_lo
	s_cbranch_execz .LBB0_29
; %bb.28:
	v_mul_f64_e32 v[0:1], v[42:43], v[96:97]
	v_mul_f64_e32 v[2:3], v[42:43], v[98:99]
	s_delay_alu instid0(VALU_DEP_2) | instskip(NEXT) | instid1(VALU_DEP_2)
	v_fma_f64 v[0:1], v[40:41], v[98:99], -v[0:1]
	v_fma_f64 v[2:3], v[40:41], v[96:97], v[2:3]
	s_delay_alu instid0(VALU_DEP_2) | instskip(SKIP_3) | instid1(VALU_DEP_2)
	v_add_f64_e64 v[42:43], v[46:47], -v[0:1]
	scratch_load_b32 v0, off, off th:TH_LOAD_LU ; 4-byte Folded Reload
	v_add_f64_e64 v[40:41], v[44:45], -v[2:3]
	v_fma_f64 v[46:47], v[46:47], 2.0, -v[42:43]
	v_fma_f64 v[44:45], v[44:45], 2.0, -v[40:41]
	s_wait_loadcnt 0x0
	v_and_or_b32 v0, 0x3f8, v0, v185
	s_delay_alu instid0(VALU_DEP_1)
	v_lshl_add_u32 v0, v0, 4, v181
	ds_store_b128 v0, v[44:47]
	ds_store_b128 v0, v[40:43] offset:64
.LBB0_29:
	s_wait_alu 0xfffe
	s_or_b32 exec_lo, exec_lo, s0
	global_wb scope:SCOPE_SE
	s_wait_dscnt 0x0
	s_barrier_signal -1
	s_barrier_wait -1
	global_inv scope:SCOPE_SE
	ds_load_b128 v[40:43], v180 offset:1408
	ds_load_b128 v[96:99], v180
	scratch_load_b128 v[12:15], off, off offset:232 th:TH_LOAD_LU ; 16-byte Folded Reload
	ds_load_b128 v[44:47], v180 offset:14080
	ds_load_b128 v[132:135], v180 offset:2816
	ds_load_b128 v[136:139], v180 offset:12672
	scratch_load_b128 v[48:51], off, off offset:212 th:TH_LOAD_LU ; 16-byte Folded Reload
	ds_load_b128 v[140:143], v180 offset:4224
	ds_load_b128 v[144:147], v180 offset:11264
	ds_load_b128 v[148:151], v180 offset:9856
	;; [unrolled: 4-line block ×3, first 2 shown]
	s_mov_b32 s0, 0xf8bb580b
	s_mov_b32 s12, 0x8eee2c13
	;; [unrolled: 1-line block ×13, first 2 shown]
	s_wait_dscnt 0x5
	v_mul_f64_e32 v[18:19], v[74:75], v[142:143]
	s_wait_dscnt 0x4
	v_mul_f64_e32 v[24:25], v[82:83], v[146:147]
	;; [unrolled: 2-line block ×3, first 2 shown]
	v_mul_f64_e32 v[30:31], v[78:79], v[148:149]
	s_wait_dscnt 0x2
	v_mul_f64_e32 v[26:27], v[70:71], v[152:153]
	s_wait_dscnt 0x1
	v_mul_f64_e32 v[32:33], v[94:95], v[158:159]
	v_mul_f64_e32 v[34:35], v[94:95], v[156:157]
	;; [unrolled: 1-line block ×3, first 2 shown]
	s_mov_b32 s26, 0x7f775887
	s_wait_dscnt 0x0
	v_mul_f64_e32 v[36:37], v[86:87], v[52:53]
	s_mov_b32 s25, 0xbfe82f19
	s_mov_b32 s27, 0xbfe4f49e
	;; [unrolled: 1-line block ×7, first 2 shown]
	s_wait_alu 0xfffe
	s_mov_b32 s16, s12
	s_mov_b32 s11, 0x3fe14ced
	;; [unrolled: 1-line block ×9, first 2 shown]
	s_wait_loadcnt 0x2
	v_mul_f64_e32 v[0:1], v[14:15], v[42:43]
	v_mul_f64_e32 v[2:3], v[14:15], v[40:41]
	s_wait_loadcnt 0x1
	v_mul_f64_e32 v[4:5], v[50:51], v[44:45]
	v_mul_f64_e32 v[14:15], v[82:83], v[144:145]
	;; [unrolled: 3-line block ×3, first 2 shown]
	scratch_load_b128 v[58:61], off, off offset:292 th:TH_LOAD_LU ; 16-byte Folded Reload
	v_mul_f64_e32 v[16:17], v[50:51], v[46:47]
	global_wb scope:SCOPE_SE
	s_wait_loadcnt 0x0
	s_barrier_signal -1
	s_barrier_wait -1
	global_inv scope:SCOPE_SE
	v_fma_f64 v[0:1], v[12:13], v[40:41], v[0:1]
	v_fma_f64 v[2:3], v[12:13], v[42:43], -v[2:3]
	v_mul_f64_e32 v[12:13], v[74:75], v[140:141]
	v_fma_f64 v[40:41], v[48:49], v[46:47], -v[4:5]
	v_fma_f64 v[6:7], v[56:57], v[132:133], v[6:7]
	v_fma_f64 v[8:9], v[56:57], v[134:135], -v[8:9]
	v_fma_f64 v[50:51], v[80:81], v[146:147], -v[14:15]
	v_fma_f64 v[44:45], v[48:49], v[44:45], v[16:17]
	v_fma_f64 v[14:15], v[72:73], v[140:141], v[18:19]
	;; [unrolled: 1-line block ×3, first 2 shown]
	v_fma_f64 v[18:19], v[68:69], v[154:155], -v[26:27]
	v_fma_f64 v[24:25], v[92:93], v[156:157], v[32:33]
	v_fma_f64 v[26:27], v[92:93], v[158:159], -v[34:35]
	v_mul_f64_e32 v[4:5], v[86:87], v[54:55]
	v_fma_f64 v[16:17], v[68:69], v[152:153], v[22:23]
	v_fma_f64 v[22:23], v[76:77], v[150:151], -v[30:31]
	v_fma_f64 v[30:31], v[84:85], v[54:55], -v[36:37]
	v_add_f64_e32 v[38:39], v[98:99], v[2:3]
	v_fma_f64 v[12:13], v[72:73], v[142:143], -v[12:13]
	v_add_f64_e32 v[56:57], v[14:15], v[48:49]
	v_fma_f64 v[4:5], v[84:85], v[52:53], v[4:5]
	v_add_f64_e32 v[52:53], v[0:1], v[44:45]
	v_add_f64_e32 v[62:63], v[18:19], v[22:23]
	v_add_f64_e64 v[68:69], v[18:19], -v[22:23]
	v_add_f64_e32 v[78:79], v[26:27], v[30:31]
	v_add_f64_e64 v[86:87], v[26:27], -v[30:31]
	v_add_f64_e64 v[36:37], v[12:13], -v[50:51]
	;; [unrolled: 1-line block ×3, first 2 shown]
	v_mul_f64_e32 v[166:167], s[26:27], v[62:63]
	v_mul_f64_e32 v[164:165], s[24:25], v[68:69]
	s_wait_alu 0xfffe
	s_delay_alu instid0(VALU_DEP_4) | instskip(SKIP_2) | instid1(VALU_DEP_3)
	v_mul_f64_e32 v[152:153], s[36:37], v[36:37]
	v_mul_f64_e32 v[156:157], s[16:17], v[36:37]
	;; [unrolled: 1-line block ×3, first 2 shown]
	v_fma_f64 v[203:204], v[56:57], s[34:35], v[152:153]
	v_fma_f64 v[152:153], v[56:57], s[34:35], -v[152:153]
	s_delay_alu instid0(VALU_DEP_3) | instskip(SKIP_2) | instid1(VALU_DEP_2)
	v_fma_f64 v[207:208], v[56:57], s[2:3], v[160:161]
	v_mul_f64_e32 v[10:11], v[60:61], v[136:137]
	v_mul_f64_e32 v[20:21], v[60:61], v[138:139]
	v_fma_f64 v[42:43], v[58:59], v[138:139], -v[10:11]
	v_add_f64_e32 v[10:11], v[96:97], v[0:1]
	s_delay_alu instid0(VALU_DEP_3)
	v_fma_f64 v[46:47], v[58:59], v[136:137], v[20:21]
	v_fma_f64 v[20:21], v[76:77], v[148:149], v[28:29]
	v_add_f64_e64 v[28:29], v[2:3], -v[40:41]
	v_add_f64_e32 v[2:3], v[2:3], v[40:41]
	v_add_f64_e64 v[0:1], v[0:1], -v[44:45]
	v_add_f64_e64 v[58:59], v[14:15], -v[48:49]
	v_mul_f64_e32 v[148:149], s[18:19], v[36:37]
	v_mul_f64_e32 v[36:37], s[24:25], v[36:37]
	v_add_f64_e32 v[76:77], v[24:25], v[4:5]
	v_add_f64_e64 v[32:33], v[8:9], -v[42:43]
	v_add_f64_e32 v[10:11], v[10:11], v[6:7]
	v_add_f64_e32 v[34:35], v[8:9], v[42:43]
	;; [unrolled: 1-line block ×3, first 2 shown]
	v_mul_f64_e32 v[72:73], s[0:1], v[28:29]
	v_mul_f64_e32 v[80:81], s[12:13], v[28:29]
	;; [unrolled: 1-line block ×10, first 2 shown]
	v_add_f64_e32 v[38:39], v[12:13], v[50:51]
	v_add_f64_e32 v[54:55], v[6:7], v[46:47]
	v_add_f64_e64 v[6:7], v[6:7], -v[46:47]
	v_add_f64_e32 v[60:61], v[16:17], v[20:21]
	v_add_f64_e64 v[70:71], v[16:17], -v[20:21]
	v_mul_f64_e32 v[136:137], s[12:13], v[32:33]
	v_add_f64_e32 v[10:11], v[10:11], v[14:15]
	v_mul_f64_e32 v[138:139], s[26:27], v[34:35]
	v_add_f64_e32 v[8:9], v[8:9], v[12:13]
	v_mul_f64_e32 v[12:13], s[24:25], v[32:33]
	v_fma_f64 v[168:169], v[52:53], s[2:3], v[72:73]
	v_fma_f64 v[72:73], v[52:53], s[2:3], -v[72:73]
	v_fma_f64 v[172:173], v[52:53], s[14:15], v[80:81]
	v_fma_f64 v[174:175], v[0:1], s[16:17], v[82:83]
	v_mul_f64_e32 v[14:15], s[14:15], v[34:35]
	v_mul_f64_e32 v[140:141], s[36:37], v[32:33]
	;; [unrolled: 1-line block ×3, first 2 shown]
	v_fma_f64 v[170:171], v[0:1], s[10:11], v[74:75]
	v_fma_f64 v[74:75], v[0:1], s[0:1], v[74:75]
	;; [unrolled: 1-line block ×4, first 2 shown]
	v_mul_f64_e32 v[144:145], s[22:23], v[32:33]
	v_mul_f64_e32 v[146:147], s[20:21], v[34:35]
	v_fma_f64 v[181:182], v[52:53], s[26:27], v[132:133]
	v_fma_f64 v[183:184], v[0:1], s[28:29], v[134:135]
	v_mul_f64_e32 v[32:33], s[10:11], v[32:33]
	v_mul_f64_e32 v[34:35], s[2:3], v[34:35]
	v_fma_f64 v[80:81], v[52:53], s[14:15], -v[80:81]
	v_fma_f64 v[82:83], v[0:1], s[12:13], v[82:83]
	v_fma_f64 v[94:95], v[0:1], s[18:19], v[94:95]
	v_fma_f64 v[132:133], v[52:53], s[26:27], -v[132:133]
	v_fma_f64 v[92:93], v[52:53], s[20:21], -v[92:93]
	v_mul_f64_e32 v[150:151], s[20:21], v[38:39]
	v_mul_f64_e32 v[154:155], s[34:35], v[38:39]
	;; [unrolled: 1-line block ×5, first 2 shown]
	v_add_f64_e32 v[10:11], v[10:11], v[16:17]
	v_fma_f64 v[16:17], v[0:1], s[24:25], v[134:135]
	v_add_f64_e32 v[8:9], v[8:9], v[18:19]
	v_fma_f64 v[18:19], v[52:53], s[34:35], v[28:29]
	v_fma_f64 v[134:135], v[0:1], s[36:37], v[2:3]
	v_fma_f64 v[28:29], v[52:53], s[34:35], -v[28:29]
	v_fma_f64 v[0:1], v[0:1], s[30:31], v[2:3]
	v_fma_f64 v[2:3], v[54:55], s[14:15], v[136:137]
	v_fma_f64 v[136:137], v[54:55], s[14:15], -v[136:137]
	v_fma_f64 v[185:186], v[54:55], s[26:27], v[12:13]
	v_fma_f64 v[187:188], v[6:7], s[28:29], v[138:139]
	v_add_f64_e32 v[168:169], v[96:97], v[168:169]
	v_add_f64_e32 v[72:73], v[96:97], v[72:73]
	;; [unrolled: 1-line block ×4, first 2 shown]
	v_fma_f64 v[52:53], v[6:7], s[16:17], v[14:15]
	v_fma_f64 v[14:15], v[6:7], s[12:13], v[14:15]
	;; [unrolled: 1-line block ×4, first 2 shown]
	v_add_f64_e32 v[74:75], v[98:99], v[74:75]
	v_add_f64_e32 v[176:177], v[96:97], v[176:177]
	;; [unrolled: 1-line block ×3, first 2 shown]
	v_fma_f64 v[193:194], v[54:55], s[20:21], v[144:145]
	v_fma_f64 v[195:196], v[6:7], s[18:19], v[146:147]
	v_add_f64_e32 v[181:182], v[96:97], v[181:182]
	v_add_f64_e32 v[183:184], v[98:99], v[183:184]
	v_fma_f64 v[12:13], v[54:55], s[26:27], -v[12:13]
	v_fma_f64 v[197:198], v[54:55], s[2:3], v[32:33]
	v_fma_f64 v[199:200], v[6:7], s[0:1], v[34:35]
	v_add_f64_e32 v[80:81], v[96:97], v[80:81]
	v_fma_f64 v[138:139], v[6:7], s[24:25], v[138:139]
	v_fma_f64 v[142:143], v[6:7], s[36:37], v[142:143]
	;; [unrolled: 1-line block ×3, first 2 shown]
	v_fma_f64 v[32:33], v[54:55], s[2:3], -v[32:33]
	v_fma_f64 v[6:7], v[6:7], s[10:11], v[34:35]
	v_fma_f64 v[144:145], v[54:55], s[20:21], -v[144:145]
	v_add_f64_e32 v[132:133], v[96:97], v[132:133]
	v_fma_f64 v[140:141], v[54:55], s[34:35], -v[140:141]
	v_add_f64_e32 v[10:11], v[10:11], v[24:25]
	v_add_f64_e32 v[16:17], v[98:99], v[16:17]
	;; [unrolled: 1-line block ×11, first 2 shown]
	v_fma_f64 v[34:35], v[56:57], s[20:21], v[148:149]
	v_fma_f64 v[54:55], v[58:59], s[22:23], v[150:151]
	v_fma_f64 v[148:149], v[56:57], s[20:21], -v[148:149]
	v_fma_f64 v[150:151], v[58:59], s[18:19], v[150:151]
	v_fma_f64 v[205:206], v[58:59], s[30:31], v[154:155]
	v_fma_f64 v[154:155], v[58:59], s[36:37], v[154:155]
	v_fma_f64 v[24:25], v[56:57], s[14:15], v[156:157]
	v_fma_f64 v[26:27], v[58:59], s[12:13], v[158:159]
	v_fma_f64 v[156:157], v[56:57], s[14:15], -v[156:157]
	v_fma_f64 v[158:159], v[58:59], s[16:17], v[158:159]
	v_fma_f64 v[96:97], v[58:59], s[10:11], v[162:163]
	v_fma_f64 v[98:99], v[56:57], s[2:3], -v[160:161]
	v_fma_f64 v[160:161], v[58:59], s[0:1], v[162:163]
	v_fma_f64 v[162:163], v[56:57], s[26:27], v[36:37]
	;; [unrolled: 3-line block ×3, first 2 shown]
	v_mul_f64_e32 v[58:59], s[22:23], v[68:69]
	v_add_f64_e32 v[2:3], v[2:3], v[168:169]
	v_mul_f64_e32 v[168:169], s[20:21], v[62:63]
	v_add_f64_e32 v[72:73], v[136:137], v[72:73]
	v_add_f64_e32 v[172:173], v[185:186], v[172:173]
	;; [unrolled: 1-line block ×3, first 2 shown]
	v_mul_f64_e32 v[136:137], s[0:1], v[68:69]
	v_add_f64_e32 v[14:15], v[14:15], v[74:75]
	v_mul_f64_e32 v[74:75], s[2:3], v[62:63]
	v_add_f64_e32 v[176:177], v[189:190], v[176:177]
	v_add_f64_e32 v[4:5], v[10:11], v[4:5]
	;; [unrolled: 1-line block ×4, first 2 shown]
	v_mul_f64_e32 v[10:11], s[30:31], v[68:69]
	v_mul_f64_e32 v[30:31], s[34:35], v[62:63]
	v_add_f64_e32 v[181:182], v[193:194], v[181:182]
	v_add_f64_e32 v[183:184], v[195:196], v[183:184]
	v_mul_f64_e32 v[68:69], s[16:17], v[68:69]
	v_mul_f64_e32 v[62:63], s[14:15], v[62:63]
	v_add_f64_e32 v[12:13], v[12:13], v[80:81]
	v_add_f64_e32 v[18:19], v[197:198], v[18:19]
	;; [unrolled: 1-line block ×10, first 2 shown]
	v_mul_f64_e32 v[80:81], s[10:11], v[86:87]
	v_mul_f64_e32 v[189:190], s[2:3], v[78:79]
	;; [unrolled: 1-line block ×9, first 2 shown]
	v_fma_f64 v[199:200], v[60:61], s[20:21], v[58:59]
	v_add_f64_e32 v[2:3], v[34:35], v[2:3]
	v_fma_f64 v[32:33], v[70:71], s[18:19], v[168:169]
	v_add_f64_e32 v[34:35], v[148:149], v[72:73]
	v_add_f64_e32 v[72:73], v[203:204], v[172:173]
	v_add_f64_e32 v[148:149], v[205:206], v[174:175]
	v_fma_f64 v[94:95], v[60:61], s[2:3], -v[136:137]
	v_add_f64_e32 v[14:15], v[150:151], v[14:15]
	v_mul_f64_e32 v[78:79], s[20:21], v[78:79]
	v_add_f64_e32 v[24:25], v[24:25], v[176:177]
	v_add_f64_e32 v[4:5], v[4:5], v[20:21]
	;; [unrolled: 1-line block ×4, first 2 shown]
	v_fma_f64 v[22:23], v[60:61], s[2:3], v[136:137]
	v_fma_f64 v[52:53], v[70:71], s[10:11], v[74:75]
	v_add_f64_e32 v[26:27], v[26:27], v[178:179]
	v_fma_f64 v[136:137], v[60:61], s[34:35], v[10:11]
	v_fma_f64 v[138:139], v[70:71], s[36:37], v[30:31]
	v_add_f64_e32 v[150:151], v[207:208], v[181:182]
	v_add_f64_e32 v[96:97], v[96:97], v[183:184]
	v_fma_f64 v[58:59], v[60:61], s[20:21], -v[58:59]
	v_fma_f64 v[142:143], v[60:61], s[14:15], v[68:69]
	v_fma_f64 v[146:147], v[70:71], s[12:13], v[62:63]
	v_add_f64_e32 v[12:13], v[152:153], v[12:13]
	v_add_f64_e32 v[18:19], v[162:163], v[18:19]
	;; [unrolled: 1-line block ×3, first 2 shown]
	v_fma_f64 v[144:145], v[60:61], s[26:27], v[164:165]
	v_fma_f64 v[164:165], v[60:61], s[26:27], -v[164:165]
	v_fma_f64 v[10:11], v[60:61], s[34:35], -v[10:11]
	;; [unrolled: 1-line block ×3, first 2 shown]
	v_fma_f64 v[62:63], v[70:71], s[16:17], v[62:63]
	v_add_f64_e32 v[28:29], v[36:37], v[28:29]
	v_add_f64_e32 v[0:1], v[38:39], v[0:1]
	v_fma_f64 v[30:31], v[70:71], s[30:31], v[30:31]
	v_add_f64_e32 v[98:99], v[98:99], v[132:133]
	v_add_f64_e32 v[6:7], v[160:161], v[6:7]
	;; [unrolled: 3-line block ×3, first 2 shown]
	v_fma_f64 v[168:169], v[70:71], s[22:23], v[168:169]
	v_add_f64_e32 v[36:37], v[154:155], v[82:83]
	v_fma_f64 v[197:198], v[70:71], s[28:29], v[166:167]
	v_fma_f64 v[166:167], v[70:71], s[24:25], v[166:167]
	;; [unrolled: 1-line block ×3, first 2 shown]
	v_add_f64_e32 v[32:33], v[32:33], v[148:149]
	v_fma_f64 v[82:83], v[76:77], s[26:27], v[191:192]
	v_fma_f64 v[134:135], v[84:85], s[28:29], v[140:141]
	;; [unrolled: 1-line block ×3, first 2 shown]
	v_add_f64_e32 v[4:5], v[4:5], v[48:49]
	v_add_f64_e32 v[20:21], v[54:55], v[20:21]
	;; [unrolled: 1-line block ×3, first 2 shown]
	v_fma_f64 v[54:55], v[84:85], s[0:1], v[189:190]
	v_add_f64_e32 v[50:51], v[199:200], v[72:73]
	v_add_f64_e32 v[22:23], v[22:23], v[24:25]
	;; [unrolled: 1-line block ×3, first 2 shown]
	v_fma_f64 v[70:71], v[76:77], s[34:35], -v[185:186]
	v_fma_f64 v[80:81], v[76:77], s[2:3], -v[80:81]
	;; [unrolled: 1-line block ×3, first 2 shown]
	v_fma_f64 v[154:155], v[76:77], s[14:15], v[193:194]
	v_fma_f64 v[156:157], v[84:85], s[12:13], v[195:196]
	v_fma_f64 v[158:159], v[76:77], s[14:15], -v[193:194]
	v_fma_f64 v[162:163], v[76:77], s[20:21], v[86:87]
	v_fma_f64 v[86:87], v[76:77], s[20:21], -v[86:87]
	v_add_f64_e32 v[72:73], v[136:137], v[150:151]
	v_add_f64_e32 v[76:77], v[138:139], v[96:97]
	v_fma_f64 v[172:173], v[84:85], s[22:23], v[78:79]
	v_add_f64_e32 v[12:13], v[58:59], v[12:13]
	v_add_f64_e32 v[18:19], v[142:143], v[18:19]
	;; [unrolled: 1-line block ×3, first 2 shown]
	v_fma_f64 v[78:79], v[84:85], s[18:19], v[78:79]
	v_add_f64_e32 v[28:29], v[60:61], v[28:29]
	v_add_f64_e32 v[0:1], v[62:63], v[0:1]
	v_fma_f64 v[160:161], v[84:85], s[16:17], v[195:196]
	v_add_f64_e32 v[10:11], v[10:11], v[98:99]
	v_add_f64_e32 v[6:7], v[30:31], v[6:7]
	;; [unrolled: 3-line block ×3, first 2 shown]
	v_add_f64_e32 v[26:27], v[94:95], v[92:93]
	v_add_f64_e32 v[16:17], v[74:75], v[16:17]
	v_fma_f64 v[132:133], v[84:85], s[10:11], v[189:190]
	v_add_f64_e32 v[30:31], v[168:169], v[36:37]
	v_fma_f64 v[185:186], v[84:85], s[30:31], v[187:188]
	;; [unrolled: 2-line block ×3, first 2 shown]
	v_add_f64_e32 v[4:5], v[4:5], v[46:47]
	v_add_f64_e32 v[20:21], v[197:198], v[20:21]
	v_add_f64_e32 v[8:9], v[8:9], v[42:43]
	v_add_f64_e32 v[52:53], v[54:55], v[32:33]
	v_add_f64_e32 v[50:51], v[38:39], v[50:51]
	v_add_f64_e32 v[58:59], v[82:83], v[22:23]
	v_add_f64_e32 v[60:61], v[134:135], v[24:25]
	v_add_f64_e32 v[72:73], v[154:155], v[72:73]
	v_add_f64_e32 v[74:75], v[156:157], v[76:77]
	v_add_f64_e32 v[54:55], v[80:81], v[12:13]
	v_add_f64_e32 v[80:81], v[162:163], v[18:19]
	v_add_f64_e32 v[82:83], v[172:173], v[56:57]
	v_add_f64_e32 v[84:85], v[86:87], v[28:29]
	v_add_f64_e32 v[86:87], v[78:79], v[0:1]
	v_add_f64_e32 v[76:77], v[158:159], v[10:11]
	v_add_f64_e32 v[78:79], v[160:161], v[6:7]
	v_add_f64_e32 v[42:43], v[68:69], v[2:3]
	v_add_f64_e32 v[46:47], v[70:71], v[34:35]
	v_add_f64_e32 v[68:69], v[152:153], v[26:27]
	v_add_f64_e32 v[70:71], v[140:141], v[16:17]
	v_add_f64_e32 v[56:57], v[132:133], v[30:31]
	v_add_f64_e32 v[48:49], v[185:186], v[14:15]
	v_add_f64_e32 v[92:93], v[4:5], v[44:45]
	v_add_f64_e32 v[44:45], v[170:171], v[20:21]
	v_add_f64_e32 v[94:95], v[8:9], v[40:41]
	ds_store_b128 v202, v[50:53] offset:256
	ds_store_b128 v202, v[58:61] offset:384
	;; [unrolled: 1-line block ×9, first 2 shown]
	ds_store_b128 v202, v[92:95]
	ds_store_b128 v202, v[42:45] offset:128
	global_wb scope:SCOPE_SE
	s_wait_dscnt 0x0
	s_barrier_signal -1
	s_barrier_wait -1
	global_inv scope:SCOPE_SE
	ds_load_b128 v[40:43], v180 offset:1408
	ds_load_b128 v[52:55], v180
	ds_load_b128 v[46:49], v180 offset:14080
	ds_load_b128 v[56:59], v180 offset:2816
	;; [unrolled: 1-line block ×3, first 2 shown]
	s_wait_dscnt 0x4
	v_mul_f64_e32 v[0:1], v[66:67], v[42:43]
	v_mul_f64_e32 v[2:3], v[66:67], v[40:41]
	s_wait_dscnt 0x2
	v_mul_f64_e32 v[4:5], v[106:107], v[46:47]
	s_wait_dscnt 0x1
	;; [unrolled: 2-line block ×3, first 2 shown]
	v_mul_f64_e32 v[8:9], v[102:103], v[60:61]
	v_mul_f64_e32 v[10:11], v[90:91], v[58:59]
	ds_load_b128 v[66:69], v180 offset:4224
	ds_load_b128 v[70:73], v180 offset:11264
	;; [unrolled: 1-line block ×6, first 2 shown]
	v_mul_f64_e32 v[16:17], v[106:107], v[48:49]
	v_mul_f64_e32 v[20:21], v[102:103], v[62:63]
	s_wait_dscnt 0x5
	v_mul_f64_e32 v[12:13], v[114:115], v[66:67]
	s_wait_dscnt 0x4
	v_mul_f64_e32 v[14:15], v[122:123], v[70:71]
	v_mul_f64_e32 v[18:19], v[114:115], v[68:69]
	s_wait_dscnt 0x3
	v_mul_f64_e32 v[26:27], v[110:111], v[74:75]
	s_wait_dscnt 0x1
	;; [unrolled: 2-line block ×3, first 2 shown]
	v_mul_f64_e32 v[34:35], v[130:131], v[92:93]
	v_mul_f64_e32 v[36:37], v[126:127], v[80:81]
	v_mul_f64_e32 v[22:23], v[110:111], v[76:77]
	v_mul_f64_e32 v[24:25], v[122:123], v[72:73]
	v_mul_f64_e32 v[30:31], v[118:119], v[82:83]
	v_mul_f64_e32 v[32:33], v[130:131], v[94:95]
	v_mul_f64_e32 v[38:39], v[126:127], v[78:79]
	v_fma_f64 v[0:1], v[64:65], v[40:41], v[0:1]
	v_fma_f64 v[2:3], v[64:65], v[42:43], -v[2:3]
	v_fma_f64 v[40:41], v[104:105], v[48:49], -v[4:5]
	;; [unrolled: 1-line block ×4, first 2 shown]
	v_fma_f64 v[6:7], v[88:89], v[56:57], v[10:11]
	v_fma_f64 v[42:43], v[104:105], v[46:47], v[16:17]
	;; [unrolled: 1-line block ×3, first 2 shown]
	v_fma_f64 v[12:13], v[112:113], v[68:69], -v[12:13]
	v_fma_f64 v[48:49], v[120:121], v[72:73], -v[14:15]
	v_fma_f64 v[14:15], v[112:113], v[66:67], v[18:19]
	v_fma_f64 v[18:19], v[108:109], v[76:77], -v[26:27]
	v_fma_f64 v[20:21], v[116:117], v[82:83], v[28:29]
	;; [unrolled: 2-line block ×3, first 2 shown]
	v_fma_f64 v[16:17], v[108:109], v[74:75], v[22:23]
	v_fma_f64 v[50:51], v[120:121], v[70:71], v[24:25]
	v_fma_f64 v[22:23], v[116:117], v[84:85], -v[30:31]
	v_fma_f64 v[24:25], v[128:129], v[92:93], v[32:33]
	v_fma_f64 v[30:31], v[124:125], v[80:81], -v[38:39]
	v_add_f64_e32 v[8:9], v[52:53], v[0:1]
	v_add_f64_e32 v[10:11], v[54:55], v[2:3]
	v_add_f64_e64 v[32:33], v[2:3], -v[40:41]
	v_add_f64_e32 v[2:3], v[2:3], v[40:41]
	v_add_f64_e64 v[34:35], v[4:5], -v[44:45]
	v_add_f64_e32 v[36:37], v[4:5], v[44:45]
	v_add_f64_e32 v[56:57], v[0:1], v[42:43]
	v_add_f64_e64 v[0:1], v[0:1], -v[42:43]
	v_add_f64_e32 v[58:59], v[6:7], v[46:47]
	v_add_f64_e32 v[38:39], v[12:13], v[48:49]
	;; [unrolled: 1-line block ×3, first 2 shown]
	v_add_f64_e64 v[70:71], v[16:17], -v[20:21]
	v_add_f64_e32 v[66:67], v[18:19], v[22:23]
	v_add_f64_e64 v[68:69], v[18:19], -v[22:23]
	v_add_f64_e32 v[74:75], v[26:27], v[30:31]
	v_add_f64_e32 v[60:61], v[14:15], v[50:51]
	v_add_f64_e64 v[62:63], v[14:15], -v[50:51]
	v_add_f64_e32 v[72:73], v[24:25], v[28:29]
	v_add_f64_e64 v[76:77], v[24:25], -v[28:29]
	v_add_f64_e32 v[8:9], v[8:9], v[6:7]
	v_add_f64_e32 v[4:5], v[10:11], v[4:5]
	v_mul_f64_e32 v[80:81], s[0:1], v[32:33]
	v_mul_f64_e32 v[82:83], s[2:3], v[2:3]
	;; [unrolled: 1-line block ×10, first 2 shown]
	v_add_f64_e64 v[10:11], v[12:13], -v[48:49]
	v_add_f64_e64 v[6:7], v[6:7], -v[46:47]
	v_mul_f64_e32 v[96:97], s[12:13], v[34:35]
	v_mul_f64_e32 v[98:99], s[14:15], v[36:37]
	;; [unrolled: 1-line block ×6, first 2 shown]
	v_add_f64_e64 v[78:79], v[26:27], -v[30:31]
	v_mul_f64_e32 v[110:111], s[20:21], v[38:39]
	v_mul_f64_e32 v[114:115], s[34:35], v[38:39]
	;; [unrolled: 1-line block ×12, first 2 shown]
	v_add_f64_e32 v[8:9], v[8:9], v[14:15]
	v_add_f64_e32 v[4:5], v[4:5], v[12:13]
	v_mul_f64_e32 v[12:13], s[26:27], v[36:37]
	v_mul_f64_e32 v[14:15], s[36:37], v[34:35]
	v_fma_f64 v[156:157], v[56:57], s[14:15], v[84:85]
	v_fma_f64 v[158:159], v[0:1], s[16:17], v[86:87]
	v_fma_f64 v[84:85], v[56:57], s[14:15], -v[84:85]
	v_fma_f64 v[160:161], v[56:57], s[20:21], v[88:89]
	v_fma_f64 v[162:163], v[0:1], s[22:23], v[90:91]
	v_fma_f64 v[88:89], v[56:57], s[20:21], -v[88:89]
	v_fma_f64 v[164:165], v[56:57], s[26:27], v[92:93]
	v_fma_f64 v[166:167], v[0:1], s[28:29], v[94:95]
	v_mul_f64_e32 v[34:35], s[10:11], v[34:35]
	v_mul_f64_e32 v[36:37], s[2:3], v[36:37]
	v_fma_f64 v[92:93], v[56:57], s[26:27], -v[92:93]
	v_fma_f64 v[168:169], v[56:57], s[34:35], v[32:33]
	v_fma_f64 v[170:171], v[0:1], s[36:37], v[2:3]
	;; [unrolled: 1-line block ×5, first 2 shown]
	v_fma_f64 v[32:33], v[56:57], s[34:35], -v[32:33]
	v_mul_f64_e32 v[108:109], s[18:19], v[10:11]
	v_mul_f64_e32 v[112:113], s[36:37], v[10:11]
	v_fma_f64 v[172:173], v[58:59], s[26:27], v[100:101]
	v_mul_f64_e32 v[116:117], s[16:17], v[10:11]
	v_fma_f64 v[100:101], v[58:59], s[26:27], -v[100:101]
	v_fma_f64 v[178:179], v[6:7], s[30:31], v[102:103]
	v_mul_f64_e32 v[120:121], s[0:1], v[10:11]
	v_fma_f64 v[181:182], v[58:59], s[20:21], v[104:105]
	v_fma_f64 v[183:184], v[6:7], s[18:19], v[106:107]
	v_mul_f64_e32 v[10:11], s[24:25], v[10:11]
	v_fma_f64 v[104:105], v[58:59], s[20:21], -v[104:105]
	v_fma_f64 v[102:103], v[6:7], s[36:37], v[102:103]
	v_fma_f64 v[187:188], v[62:63], s[30:31], v[114:115]
	v_mul_f64_e32 v[132:133], s[0:1], v[68:69]
	v_mul_f64_e32 v[134:135], s[2:3], v[66:67]
	v_fma_f64 v[191:192], v[62:63], s[12:13], v[118:119]
	v_mul_f64_e32 v[136:137], s[30:31], v[68:69]
	v_add_f64_e32 v[8:9], v[8:9], v[16:17]
	v_add_f64_e32 v[4:5], v[4:5], v[18:19]
	v_mul_f64_e32 v[16:17], s[20:21], v[74:75]
	v_fma_f64 v[18:19], v[56:57], s[2:3], v[80:81]
	v_fma_f64 v[74:75], v[0:1], s[10:11], v[82:83]
	v_fma_f64 v[80:81], v[56:57], s[2:3], -v[80:81]
	v_fma_f64 v[82:83], v[0:1], s[0:1], v[82:83]
	v_fma_f64 v[0:1], v[0:1], s[30:31], v[2:3]
	;; [unrolled: 1-line block ×4, first 2 shown]
	v_fma_f64 v[96:97], v[58:59], s[14:15], -v[96:97]
	v_fma_f64 v[98:99], v[6:7], s[12:13], v[98:99]
	v_fma_f64 v[174:175], v[6:7], s[28:29], v[12:13]
	v_add_f64_e32 v[156:157], v[52:53], v[156:157]
	v_add_f64_e32 v[158:159], v[54:55], v[158:159]
	v_fma_f64 v[176:177], v[58:59], s[34:35], v[14:15]
	v_add_f64_e32 v[84:85], v[52:53], v[84:85]
	v_add_f64_e32 v[160:161], v[52:53], v[160:161]
	;; [unrolled: 1-line block ×3, first 2 shown]
	v_fma_f64 v[14:15], v[58:59], s[34:35], -v[14:15]
	v_add_f64_e32 v[88:89], v[52:53], v[88:89]
	v_add_f64_e32 v[164:165], v[52:53], v[164:165]
	;; [unrolled: 1-line block ×6, first 2 shown]
	v_fma_f64 v[12:13], v[6:7], s[24:25], v[12:13]
	v_add_f64_e32 v[32:33], v[52:53], v[32:33]
	v_add_f64_e32 v[90:91], v[54:55], v[90:91]
	;; [unrolled: 1-line block ×3, first 2 shown]
	v_fma_f64 v[185:186], v[60:61], s[34:35], v[112:113]
	v_fma_f64 v[189:190], v[60:61], s[14:15], v[116:117]
	v_mul_f64_e32 v[138:139], s[34:35], v[66:67]
	v_fma_f64 v[116:117], v[60:61], s[14:15], -v[116:117]
	v_mul_f64_e32 v[126:127], s[26:27], v[66:67]
	v_mul_f64_e32 v[68:69], s[16:17], v[68:69]
	;; [unrolled: 1-line block ×3, first 2 shown]
	v_fma_f64 v[112:113], v[60:61], s[34:35], -v[112:113]
	v_add_f64_e32 v[8:9], v[8:9], v[24:25]
	v_add_f64_e32 v[4:5], v[4:5], v[26:27]
	v_fma_f64 v[24:25], v[6:7], s[22:23], v[106:107]
	v_add_f64_e32 v[18:19], v[52:53], v[18:19]
	v_fma_f64 v[26:27], v[58:59], s[2:3], v[34:35]
	v_add_f64_e32 v[80:81], v[52:53], v[80:81]
	v_add_f64_e32 v[82:83], v[54:55], v[82:83]
	v_fma_f64 v[106:107], v[6:7], s[0:1], v[36:37]
	v_fma_f64 v[34:35], v[58:59], s[2:3], -v[34:35]
	v_fma_f64 v[6:7], v[6:7], s[10:11], v[36:37]
	v_add_f64_e32 v[0:1], v[54:55], v[0:1]
	v_add_f64_e32 v[52:53], v[54:55], v[94:95]
	v_fma_f64 v[36:37], v[60:61], s[20:21], v[108:109]
	v_fma_f64 v[58:59], v[62:63], s[22:23], v[110:111]
	;; [unrolled: 1-line block ×3, first 2 shown]
	v_fma_f64 v[108:109], v[60:61], s[20:21], -v[108:109]
	v_add_f64_e32 v[84:85], v[100:101], v[84:85]
	v_fma_f64 v[94:95], v[62:63], s[0:1], v[122:123]
	v_add_f64_e32 v[100:101], v[178:179], v[162:163]
	v_fma_f64 v[118:119], v[62:63], s[16:17], v[118:119]
	v_add_f64_e32 v[14:15], v[14:15], v[88:89]
	v_add_f64_e32 v[88:89], v[181:182], v[164:165]
	v_fma_f64 v[114:115], v[62:63], s[36:37], v[114:115]
	v_add_f64_e32 v[92:93], v[104:105], v[92:93]
	v_mul_f64_e32 v[140:141], s[30:31], v[78:79]
	v_mul_f64_e32 v[144:145], s[10:11], v[78:79]
	;; [unrolled: 1-line block ×5, first 2 shown]
	v_add_f64_e32 v[12:13], v[12:13], v[86:87]
	v_fma_f64 v[193:194], v[64:65], s[20:21], v[128:129]
	v_fma_f64 v[195:196], v[70:71], s[18:19], v[130:131]
	v_fma_f64 v[86:87], v[70:71], s[36:37], v[138:139]
	v_fma_f64 v[128:129], v[64:65], s[20:21], -v[128:129]
	v_fma_f64 v[130:131], v[70:71], s[22:23], v[130:131]
	v_add_f64_e32 v[8:9], v[8:9], v[28:29]
	v_add_f64_e32 v[4:5], v[4:5], v[30:31]
	;; [unrolled: 1-line block ×4, first 2 shown]
	v_fma_f64 v[30:31], v[60:61], s[2:3], v[120:121]
	v_add_f64_e32 v[18:19], v[96:97], v[80:81]
	v_add_f64_e32 v[80:81], v[98:99], v[82:83]
	;; [unrolled: 1-line block ×5, first 2 shown]
	v_fma_f64 v[54:55], v[62:63], s[10:11], v[122:123]
	v_add_f64_e32 v[156:157], v[183:184], v[166:167]
	v_fma_f64 v[74:75], v[60:61], s[2:3], -v[120:121]
	v_fma_f64 v[120:121], v[60:61], s[26:27], v[10:11]
	v_fma_f64 v[122:123], v[62:63], s[28:29], v[38:39]
	v_add_f64_e32 v[26:27], v[26:27], v[168:169]
	v_add_f64_e32 v[104:105], v[106:107], v[170:171]
	v_fma_f64 v[10:11], v[60:61], s[26:27], -v[10:11]
	v_fma_f64 v[38:39], v[62:63], s[24:25], v[38:39]
	v_add_f64_e32 v[32:33], v[34:35], v[32:33]
	v_add_f64_e32 v[0:1], v[6:7], v[0:1]
	;; [unrolled: 1-line block ×4, first 2 shown]
	v_fma_f64 v[60:61], v[64:65], s[26:27], v[124:125]
	v_fma_f64 v[124:125], v[64:65], s[26:27], -v[124:125]
	v_fma_f64 v[34:35], v[64:65], s[2:3], -v[132:133]
	v_add_f64_e32 v[14:15], v[116:117], v[14:15]
	v_fma_f64 v[106:107], v[64:65], s[14:15], v[68:69]
	v_add_f64_e32 v[84:85], v[112:113], v[84:85]
	v_fma_f64 v[90:91], v[64:65], s[34:35], -v[136:137]
	v_fma_f64 v[102:103], v[70:71], s[30:31], v[138:139]
	v_fma_f64 v[52:53], v[70:71], s[0:1], v[134:135]
	v_add_f64_e32 v[12:13], v[114:115], v[12:13]
	v_fma_f64 v[62:63], v[70:71], s[28:29], v[126:127]
	v_fma_f64 v[126:127], v[70:71], s[24:25], v[126:127]
	v_fma_f64 v[114:115], v[72:73], s[14:15], -v[152:153]
	v_fma_f64 v[112:113], v[76:77], s[12:13], v[154:155]
	v_fma_f64 v[116:117], v[76:77], s[16:17], v[154:155]
	v_add_f64_e32 v[8:9], v[8:9], v[20:21]
	v_add_f64_e32 v[4:5], v[4:5], v[22:23]
	;; [unrolled: 1-line block ×4, first 2 shown]
	v_fma_f64 v[22:23], v[64:65], s[2:3], v[132:133]
	v_fma_f64 v[28:29], v[70:71], s[10:11], v[134:135]
	v_add_f64_e32 v[36:37], v[110:111], v[80:81]
	v_add_f64_e32 v[80:81], v[185:186], v[82:83]
	;; [unrolled: 1-line block ×5, first 2 shown]
	v_fma_f64 v[56:57], v[64:65], s[34:35], v[136:137]
	v_add_f64_e32 v[18:19], v[108:109], v[18:19]
	v_add_f64_e32 v[30:31], v[30:31], v[88:89]
	;; [unrolled: 1-line block ×3, first 2 shown]
	v_fma_f64 v[132:133], v[70:71], s[12:13], v[66:67]
	v_add_f64_e32 v[26:27], v[120:121], v[26:27]
	v_add_f64_e32 v[88:89], v[122:123], v[104:105]
	v_fma_f64 v[64:65], v[64:65], s[14:15], -v[68:69]
	v_fma_f64 v[66:67], v[70:71], s[16:17], v[66:67]
	v_add_f64_e32 v[10:11], v[10:11], v[32:33]
	v_add_f64_e32 v[0:1], v[38:39], v[0:1]
	;; [unrolled: 1-line block ×5, first 2 shown]
	v_fma_f64 v[68:69], v[72:73], s[34:35], v[140:141]
	v_fma_f64 v[70:71], v[72:73], s[34:35], -v[140:141]
	v_fma_f64 v[32:33], v[72:73], s[2:3], v[144:145]
	v_fma_f64 v[38:39], v[76:77], s[0:1], v[146:147]
	;; [unrolled: 1-line block ×3, first 2 shown]
	v_fma_f64 v[104:105], v[72:73], s[26:27], -v[148:149]
	v_fma_f64 v[110:111], v[72:73], s[14:15], v[152:153]
	v_fma_f64 v[118:119], v[72:73], s[20:21], v[78:79]
	v_fma_f64 v[122:123], v[72:73], s[20:21], -v[78:79]
	v_fma_f64 v[100:101], v[76:77], s[28:29], v[150:151]
	v_add_f64_e32 v[14:15], v[34:35], v[14:15]
	v_fma_f64 v[134:135], v[76:77], s[36:37], v[142:143]
	v_fma_f64 v[136:137], v[76:77], s[30:31], v[142:143]
	v_add_f64_e32 v[8:9], v[8:9], v[50:51]
	v_add_f64_e32 v[4:5], v[4:5], v[48:49]
	;; [unrolled: 1-line block ×3, first 2 shown]
	v_fma_f64 v[58:59], v[72:73], s[2:3], -v[144:145]
	v_add_f64_e32 v[2:3], v[60:61], v[2:3]
	v_fma_f64 v[92:93], v[76:77], s[10:11], v[146:147]
	v_fma_f64 v[108:109], v[76:77], s[24:25], v[150:151]
	v_add_f64_e32 v[60:61], v[193:194], v[80:81]
	v_add_f64_e32 v[72:73], v[195:196], v[82:83]
	;; [unrolled: 1-line block ×4, first 2 shown]
	v_fma_f64 v[120:121], v[76:77], s[22:23], v[16:17]
	v_add_f64_e32 v[18:19], v[124:125], v[18:19]
	v_add_f64_e32 v[30:31], v[56:57], v[30:31]
	;; [unrolled: 1-line block ×3, first 2 shown]
	v_fma_f64 v[16:17], v[76:77], s[18:19], v[16:17]
	v_add_f64_e32 v[76:77], v[128:129], v[84:85]
	v_add_f64_e32 v[26:27], v[106:107], v[26:27]
	;; [unrolled: 1-line block ×10, first 2 shown]
	s_mul_u64 s[0:1], s[4:5], 0x1e4
	s_wait_alu 0xfffe
	s_lshl_b64 s[2:3], s[0:1], 4
	v_add_f64_e32 v[64:65], v[104:105], v[14:15]
	v_add_f64_e32 v[8:9], v[8:9], v[46:47]
	;; [unrolled: 1-line block ×5, first 2 shown]
	v_mad_co_u64_u32 v[2:3], null, s4, v255, 0
	v_add_f64_e32 v[52:53], v[32:33], v[60:61]
	v_add_f64_e32 v[54:55], v[38:39], v[72:73]
	;; [unrolled: 1-line block ×20, first 2 shown]
	ds_store_b128 v180, v[52:55] offset:2816
	ds_store_b128 v180, v[60:63] offset:4224
	;; [unrolled: 1-line block ×9, first 2 shown]
	ds_store_b128 v180, v[84:87]
	ds_store_b128 v180, v[44:47] offset:1408
	global_wb scope:SCOPE_SE
	s_wait_dscnt 0x0
	s_barrier_signal -1
	s_barrier_wait -1
	global_inv scope:SCOPE_SE
	ds_load_b128 v[40:43], v180
	ds_load_b128 v[44:47], v180 offset:7744
	scratch_load_b64 v[0:1], off, off offset:20 th:TH_LOAD_LU ; 8-byte Folded Reload
	ds_load_b128 v[48:51], v180 offset:1408
	ds_load_b128 v[52:55], v180 offset:9152
	;; [unrolled: 1-line block ×8, first 2 shown]
	s_clause 0x2
	scratch_load_b128 v[92:95], off, off offset:44 th:TH_LOAD_LU
	scratch_load_b128 v[88:91], off, off offset:28 th:TH_LOAD_LU
	;; [unrolled: 1-line block ×3, first 2 shown]
	s_wait_loadcnt 0x3
	v_mov_b32_e32 v4, v0
	s_wait_loadcnt_dscnt 0x209
	v_mul_f64_e32 v[7:8], v[94:95], v[40:41]
	s_wait_loadcnt_dscnt 0x108
	v_mul_f64_e32 v[9:10], v[90:91], v[46:47]
	v_mad_co_u64_u32 v[0:1], null, s6, v4, 0
	v_mul_f64_e32 v[11:12], v[90:91], v[44:45]
	s_wait_loadcnt_dscnt 0x5
	v_mul_f64_e32 v[21:22], v[104:105], v[58:59]
	v_mul_f64_e32 v[23:24], v[104:105], v[56:57]
	scratch_load_b128 v[104:107], off, off offset:124 th:TH_LOAD_LU ; 16-byte Folded Reload
	v_mad_co_u64_u32 v[4:5], null, s7, v4, v[1:2]
	v_mul_f64_e32 v[5:6], v[94:95], v[42:43]
	scratch_load_b128 v[94:97], off, off offset:60 th:TH_LOAD_LU ; 16-byte Folded Reload
	s_movk_i32 s6, 0xfe74
	s_mov_b32 s7, -1
	v_mov_b32_e32 v1, v4
	v_mad_co_u64_u32 v[86:87], null, s5, v255, v[3:4]
	s_wait_alu 0xfffe
	s_mul_u64 s[4:5], s[4:5], s[6:7]
	s_mov_b32 s6, 0x6be69c90
	v_lshlrev_b64_e32 v[0:1], 4, v[0:1]
	s_wait_alu 0xfffe
	s_lshl_b64 s[4:5], s[4:5], 4
	s_mov_b32 s7, 0x3f50ecf5
	v_mov_b32_e32 v3, v86
	s_delay_alu instid0(VALU_DEP_2) | instskip(SKIP_2) | instid1(VALU_DEP_3)
	v_add_co_u32 v86, s0, s8, v0
	s_wait_alu 0xf1ff
	v_add_co_ci_u32_e64 v87, s0, s9, v1, s0
	v_lshlrev_b64_e32 v[2:3], 4, v[2:3]
	v_fma_f64 v[0:1], v[92:93], v[40:41], v[5:6]
	v_fma_f64 v[4:5], v[92:93], v[42:43], -v[7:8]
	v_fma_f64 v[6:7], v[88:89], v[44:45], v[9:10]
	v_fma_f64 v[8:9], v[88:89], v[46:47], -v[11:12]
	v_add_co_u32 v42, s0, v86, v2
	s_wait_alu 0xf1ff
	v_add_co_ci_u32_e64 v43, s0, v87, v3, s0
	s_delay_alu instid0(VALU_DEP_2) | instskip(SKIP_1) | instid1(VALU_DEP_2)
	v_add_co_u32 v44, s0, v42, s2
	s_wait_alu 0xf1ff
	v_add_co_ci_u32_e64 v45, s0, s3, v43, s0
	s_wait_alu 0xfffe
	s_delay_alu instid0(VALU_DEP_2) | instskip(SKIP_1) | instid1(VALU_DEP_2)
	v_add_co_u32 v46, s0, v44, s4
	s_wait_alu 0xf1ff
	v_add_co_ci_u32_e64 v47, s0, s5, v45, s0
	v_mul_f64_e32 v[2:3], s[6:7], v[0:1]
	v_mul_f64_e32 v[4:5], s[6:7], v[4:5]
	;; [unrolled: 1-line block ×4, first 2 shown]
	s_wait_loadcnt_dscnt 0x103
	v_mul_f64_e32 v[29:30], v[106:107], v[66:67]
	v_mul_f64_e32 v[31:32], v[106:107], v[64:65]
	scratch_load_b128 v[106:109], off, off offset:140 th:TH_LOAD_LU ; 16-byte Folded Reload
	s_wait_loadcnt 0x1
	v_mul_f64_e32 v[13:14], v[96:97], v[50:51]
	v_mul_f64_e32 v[15:16], v[96:97], v[48:49]
	scratch_load_b128 v[96:99], off, off offset:76 th:TH_LOAD_LU ; 16-byte Folded Reload
	v_fma_f64 v[10:11], v[94:95], v[48:49], v[13:14]
	v_fma_f64 v[12:13], v[94:95], v[50:51], -v[15:16]
	v_add_co_u32 v48, s0, v46, s2
	s_wait_alu 0xf1ff
	v_add_co_ci_u32_e64 v49, s0, s3, v47, s0
	s_delay_alu instid0(VALU_DEP_2) | instskip(SKIP_1) | instid1(VALU_DEP_2)
	v_add_co_u32 v50, s0, v48, s4
	s_wait_alu 0xf1ff
	v_add_co_ci_u32_e64 v51, s0, s5, v49, s0
	v_mul_f64_e32 v[10:11], s[6:7], v[10:11]
	v_mul_f64_e32 v[12:13], s[6:7], v[12:13]
	s_wait_loadcnt_dscnt 0x102
	v_mul_f64_e32 v[33:34], v[108:109], v[70:71]
	v_mul_f64_e32 v[35:36], v[108:109], v[68:69]
	scratch_load_b128 v[108:111], off, off offset:164 th:TH_LOAD_LU ; 16-byte Folded Reload
	s_wait_loadcnt 0x1
	v_mul_f64_e32 v[17:18], v[98:99], v[54:55]
	v_mul_f64_e32 v[19:20], v[98:99], v[52:53]
	scratch_load_b128 v[98:101], off, off offset:92 th:TH_LOAD_LU ; 16-byte Folded Reload
	v_fma_f64 v[14:15], v[96:97], v[52:53], v[17:18]
	v_fma_f64 v[16:17], v[96:97], v[54:55], -v[19:20]
	v_fma_f64 v[18:19], v[102:103], v[56:57], v[21:22]
	v_fma_f64 v[20:21], v[102:103], v[58:59], -v[23:24]
	v_add_co_u32 v52, s0, v50, s2
	s_wait_alu 0xf1ff
	v_add_co_ci_u32_e64 v53, s0, s3, v51, s0
	s_delay_alu instid0(VALU_DEP_2) | instskip(SKIP_1) | instid1(VALU_DEP_2)
	v_add_co_u32 v54, s0, v52, s4
	s_wait_alu 0xf1ff
	v_add_co_ci_u32_e64 v55, s0, s5, v53, s0
	s_delay_alu instid0(VALU_DEP_2) | instskip(SKIP_1) | instid1(VALU_DEP_2)
	;; [unrolled: 4-line block ×4, first 2 shown]
	v_add_co_u32 v0, s0, v58, s2
	s_wait_alu 0xf1ff
	v_add_co_ci_u32_e64 v1, s0, s3, v59, s0
	v_mul_f64_e32 v[14:15], s[6:7], v[14:15]
	v_mul_f64_e32 v[16:17], s[6:7], v[16:17]
	;; [unrolled: 1-line block ×4, first 2 shown]
	s_wait_loadcnt_dscnt 0x101
	v_mul_f64_e32 v[37:38], v[110:111], v[74:75]
	v_mul_f64_e32 v[80:81], v[110:111], v[72:73]
	scratch_load_b128 v[110:113], off, off offset:180 th:TH_LOAD_LU ; 16-byte Folded Reload
	s_wait_loadcnt 0x1
	v_mul_f64_e32 v[25:26], v[100:101], v[62:63]
	v_mul_f64_e32 v[27:28], v[100:101], v[60:61]
	s_delay_alu instid0(VALU_DEP_2) | instskip(NEXT) | instid1(VALU_DEP_2)
	v_fma_f64 v[22:23], v[98:99], v[60:61], v[25:26]
	v_fma_f64 v[24:25], v[98:99], v[62:63], -v[27:28]
	v_fma_f64 v[26:27], v[104:105], v[64:65], v[29:30]
	v_fma_f64 v[28:29], v[104:105], v[66:67], -v[31:32]
	;; [unrolled: 2-line block ×4, first 2 shown]
	v_mul_f64_e32 v[22:23], s[6:7], v[22:23]
	v_mul_f64_e32 v[24:25], s[6:7], v[24:25]
	;; [unrolled: 1-line block ×8, first 2 shown]
	s_wait_loadcnt_dscnt 0x0
	v_mul_f64_e32 v[82:83], v[112:113], v[78:79]
	v_mul_f64_e32 v[84:85], v[112:113], v[76:77]
	s_delay_alu instid0(VALU_DEP_2) | instskip(NEXT) | instid1(VALU_DEP_2)
	v_fma_f64 v[38:39], v[110:111], v[76:77], v[82:83]
	v_fma_f64 v[40:41], v[110:111], v[78:79], -v[84:85]
	s_delay_alu instid0(VALU_DEP_2) | instskip(NEXT) | instid1(VALU_DEP_2)
	v_mul_f64_e32 v[38:39], s[6:7], v[38:39]
	v_mul_f64_e32 v[40:41], s[6:7], v[40:41]
	s_clause 0x4
	global_store_b128 v[42:43], v[2:5], off
	global_store_b128 v[44:45], v[6:9], off
	global_store_b128 v[46:47], v[10:13], off
	global_store_b128 v[48:49], v[14:17], off
	global_store_b128 v[50:51], v[18:21], off
	global_store_b128 v[52:53], v[22:25], off
	global_store_b128 v[54:55], v[26:29], off
	global_store_b128 v[56:57], v[30:33], off
	global_store_b128 v[58:59], v[34:37], off
	global_store_b128 v[0:1], v[38:41], off
	s_and_b32 exec_lo, exec_lo, vcc_lo
	s_cbranch_execz .LBB0_31
; %bb.30:
	s_clause 0x1
	global_load_b128 v[2:5], v[219:220], off offset:7040
	global_load_b128 v[6:9], v[219:220], off offset:14784
	ds_load_b128 v[10:13], v180 offset:7040
	ds_load_b128 v[14:17], v180 offset:14784
	v_add_co_u32 v0, vcc_lo, v0, s4
	s_wait_alu 0xfffd
	v_add_co_ci_u32_e32 v1, vcc_lo, s5, v1, vcc_lo
	s_wait_loadcnt_dscnt 0x101
	v_mul_f64_e32 v[18:19], v[12:13], v[4:5]
	v_mul_f64_e32 v[4:5], v[10:11], v[4:5]
	s_wait_loadcnt_dscnt 0x0
	v_mul_f64_e32 v[20:21], v[16:17], v[8:9]
	v_mul_f64_e32 v[8:9], v[14:15], v[8:9]
	s_delay_alu instid0(VALU_DEP_4) | instskip(NEXT) | instid1(VALU_DEP_4)
	v_fma_f64 v[10:11], v[10:11], v[2:3], v[18:19]
	v_fma_f64 v[4:5], v[2:3], v[12:13], -v[4:5]
	s_delay_alu instid0(VALU_DEP_4) | instskip(NEXT) | instid1(VALU_DEP_4)
	v_fma_f64 v[12:13], v[14:15], v[6:7], v[20:21]
	v_fma_f64 v[8:9], v[6:7], v[16:17], -v[8:9]
	s_delay_alu instid0(VALU_DEP_4) | instskip(NEXT) | instid1(VALU_DEP_4)
	v_mul_f64_e32 v[2:3], s[6:7], v[10:11]
	v_mul_f64_e32 v[4:5], s[6:7], v[4:5]
	s_delay_alu instid0(VALU_DEP_4) | instskip(NEXT) | instid1(VALU_DEP_4)
	v_mul_f64_e32 v[6:7], s[6:7], v[12:13]
	v_mul_f64_e32 v[8:9], s[6:7], v[8:9]
	v_add_co_u32 v10, vcc_lo, v0, s2
	s_wait_alu 0xfffd
	v_add_co_ci_u32_e32 v11, vcc_lo, s3, v1, vcc_lo
	global_store_b128 v[0:1], v[2:5], off
	global_store_b128 v[10:11], v[6:9], off
.LBB0_31:
	s_nop 0
	s_sendmsg sendmsg(MSG_DEALLOC_VGPRS)
	s_endpgm
	.section	.rodata,"a",@progbits
	.p2align	6, 0x0
	.amdhsa_kernel bluestein_single_back_len968_dim1_dp_op_CI_CI
		.amdhsa_group_segment_fixed_size 30976
		.amdhsa_private_segment_fixed_size 340
		.amdhsa_kernarg_size 104
		.amdhsa_user_sgpr_count 2
		.amdhsa_user_sgpr_dispatch_ptr 0
		.amdhsa_user_sgpr_queue_ptr 0
		.amdhsa_user_sgpr_kernarg_segment_ptr 1
		.amdhsa_user_sgpr_dispatch_id 0
		.amdhsa_user_sgpr_private_segment_size 0
		.amdhsa_wavefront_size32 1
		.amdhsa_uses_dynamic_stack 0
		.amdhsa_enable_private_segment 1
		.amdhsa_system_sgpr_workgroup_id_x 1
		.amdhsa_system_sgpr_workgroup_id_y 0
		.amdhsa_system_sgpr_workgroup_id_z 0
		.amdhsa_system_sgpr_workgroup_info 0
		.amdhsa_system_vgpr_workitem_id 0
		.amdhsa_next_free_vgpr 256
		.amdhsa_next_free_sgpr 40
		.amdhsa_reserve_vcc 1
		.amdhsa_float_round_mode_32 0
		.amdhsa_float_round_mode_16_64 0
		.amdhsa_float_denorm_mode_32 3
		.amdhsa_float_denorm_mode_16_64 3
		.amdhsa_fp16_overflow 0
		.amdhsa_workgroup_processor_mode 1
		.amdhsa_memory_ordered 1
		.amdhsa_forward_progress 0
		.amdhsa_round_robin_scheduling 0
		.amdhsa_exception_fp_ieee_invalid_op 0
		.amdhsa_exception_fp_denorm_src 0
		.amdhsa_exception_fp_ieee_div_zero 0
		.amdhsa_exception_fp_ieee_overflow 0
		.amdhsa_exception_fp_ieee_underflow 0
		.amdhsa_exception_fp_ieee_inexact 0
		.amdhsa_exception_int_div_zero 0
	.end_amdhsa_kernel
	.text
.Lfunc_end0:
	.size	bluestein_single_back_len968_dim1_dp_op_CI_CI, .Lfunc_end0-bluestein_single_back_len968_dim1_dp_op_CI_CI
                                        ; -- End function
	.section	.AMDGPU.csdata,"",@progbits
; Kernel info:
; codeLenInByte = 18212
; NumSgprs: 42
; NumVgprs: 256
; ScratchSize: 340
; MemoryBound: 0
; FloatMode: 240
; IeeeMode: 1
; LDSByteSize: 30976 bytes/workgroup (compile time only)
; SGPRBlocks: 5
; VGPRBlocks: 31
; NumSGPRsForWavesPerEU: 42
; NumVGPRsForWavesPerEU: 256
; Occupancy: 5
; WaveLimiterHint : 1
; COMPUTE_PGM_RSRC2:SCRATCH_EN: 1
; COMPUTE_PGM_RSRC2:USER_SGPR: 2
; COMPUTE_PGM_RSRC2:TRAP_HANDLER: 0
; COMPUTE_PGM_RSRC2:TGID_X_EN: 1
; COMPUTE_PGM_RSRC2:TGID_Y_EN: 0
; COMPUTE_PGM_RSRC2:TGID_Z_EN: 0
; COMPUTE_PGM_RSRC2:TIDIG_COMP_CNT: 0
	.text
	.p2alignl 7, 3214868480
	.fill 96, 4, 3214868480
	.type	__hip_cuid_2b2862bfd44b9831,@object ; @__hip_cuid_2b2862bfd44b9831
	.section	.bss,"aw",@nobits
	.globl	__hip_cuid_2b2862bfd44b9831
__hip_cuid_2b2862bfd44b9831:
	.byte	0                               ; 0x0
	.size	__hip_cuid_2b2862bfd44b9831, 1

	.ident	"AMD clang version 19.0.0git (https://github.com/RadeonOpenCompute/llvm-project roc-6.4.0 25133 c7fe45cf4b819c5991fe208aaa96edf142730f1d)"
	.section	".note.GNU-stack","",@progbits
	.addrsig
	.addrsig_sym __hip_cuid_2b2862bfd44b9831
	.amdgpu_metadata
---
amdhsa.kernels:
  - .args:
      - .actual_access:  read_only
        .address_space:  global
        .offset:         0
        .size:           8
        .value_kind:     global_buffer
      - .actual_access:  read_only
        .address_space:  global
        .offset:         8
        .size:           8
        .value_kind:     global_buffer
      - .actual_access:  read_only
        .address_space:  global
        .offset:         16
        .size:           8
        .value_kind:     global_buffer
      - .actual_access:  read_only
        .address_space:  global
        .offset:         24
        .size:           8
        .value_kind:     global_buffer
      - .actual_access:  read_only
        .address_space:  global
        .offset:         32
        .size:           8
        .value_kind:     global_buffer
      - .offset:         40
        .size:           8
        .value_kind:     by_value
      - .address_space:  global
        .offset:         48
        .size:           8
        .value_kind:     global_buffer
      - .address_space:  global
        .offset:         56
        .size:           8
        .value_kind:     global_buffer
      - .address_space:  global
        .offset:         64
        .size:           8
        .value_kind:     global_buffer
      - .address_space:  global
        .offset:         72
        .size:           8
        .value_kind:     global_buffer
      - .offset:         80
        .size:           4
        .value_kind:     by_value
      - .address_space:  global
        .offset:         88
        .size:           8
        .value_kind:     global_buffer
      - .address_space:  global
        .offset:         96
        .size:           8
        .value_kind:     global_buffer
    .group_segment_fixed_size: 30976
    .kernarg_segment_align: 8
    .kernarg_segment_size: 104
    .language:       OpenCL C
    .language_version:
      - 2
      - 0
    .max_flat_workgroup_size: 176
    .name:           bluestein_single_back_len968_dim1_dp_op_CI_CI
    .private_segment_fixed_size: 340
    .sgpr_count:     42
    .sgpr_spill_count: 0
    .symbol:         bluestein_single_back_len968_dim1_dp_op_CI_CI.kd
    .uniform_work_group_size: 1
    .uses_dynamic_stack: false
    .vgpr_count:     256
    .vgpr_spill_count: 88
    .wavefront_size: 32
    .workgroup_processor_mode: 1
amdhsa.target:   amdgcn-amd-amdhsa--gfx1201
amdhsa.version:
  - 1
  - 2
...

	.end_amdgpu_metadata
